;; amdgpu-corpus repo=ROCm/rocFFT kind=compiled arch=gfx950 opt=O3
	.text
	.amdgcn_target "amdgcn-amd-amdhsa--gfx950"
	.amdhsa_code_object_version 6
	.protected	bluestein_single_back_len300_dim1_sp_op_CI_CI ; -- Begin function bluestein_single_back_len300_dim1_sp_op_CI_CI
	.globl	bluestein_single_back_len300_dim1_sp_op_CI_CI
	.p2align	8
	.type	bluestein_single_back_len300_dim1_sp_op_CI_CI,@function
bluestein_single_back_len300_dim1_sp_op_CI_CI: ; @bluestein_single_back_len300_dim1_sp_op_CI_CI
; %bb.0:
	s_load_dwordx4 s[16:19], s[0:1], 0x28
	v_mul_u32_u24_e32 v1, 0x889, v0
	v_lshrrev_b32_e32 v1, 16, v1
	v_mov_b32_e32 v55, 0
	v_lshl_add_u32 v60, s2, 1, v1
	v_mov_b32_e32 v61, v55
	s_waitcnt lgkmcnt(0)
	v_cmp_gt_u64_e32 vcc, s[16:17], v[60:61]
	s_and_saveexec_b64 s[2:3], vcc
	s_cbranch_execz .LBB0_10
; %bb.1:
	s_load_dwordx4 s[4:7], s[0:1], 0x18
	s_load_dwordx4 s[8:11], s[0:1], 0x0
	v_mul_lo_u16_e32 v4, 30, v1
	v_sub_u16_e32 v54, v0, v4
	v_mov_b32_e32 v2, s18
	s_waitcnt lgkmcnt(0)
	s_load_dwordx4 s[12:15], s[4:5], 0x0
	v_mov_b32_e32 v3, s19
	v_lshlrev_b32_e32 v28, 3, v54
	s_mov_b32 s16, 0xbf737871
	s_mov_b32 s18, 0x3f4f1bbd
	s_waitcnt lgkmcnt(0)
	v_mad_u64_u32 v[4:5], s[2:3], s14, v60, 0
	v_mov_b32_e32 v0, v5
	v_mad_u64_u32 v[6:7], s[2:3], s15, v60, v[0:1]
	v_mov_b32_e32 v5, v6
	;; [unrolled: 2-line block ×4, first 2 shown]
	v_lshl_add_u64 v[2:3], v[4:5], 3, v[2:3]
	v_lshl_add_u64 v[2:3], v[6:7], 3, v[2:3]
	v_mov_b32_e32 v0, 0xf0
	global_load_dwordx2 v[4:5], v[2:3], off
	v_mad_u64_u32 v[2:3], s[2:3], s12, v0, v[2:3]
	s_mul_i32 s4, s13, 0xf0
	v_add_u32_e32 v3, s4, v3
	global_load_dwordx2 v[6:7], v[2:3], off
	global_load_dwordx2 v[74:75], v28, s[8:9]
	v_mad_u64_u32 v[2:3], s[2:3], s12, v0, v[2:3]
	v_add_u32_e32 v3, s4, v3
	v_mad_u64_u32 v[8:9], s[2:3], s12, v0, v[2:3]
	v_add_u32_e32 v9, s4, v9
	global_load_dwordx2 v[72:73], v28, s[8:9] offset:240
	global_load_dwordx2 v[70:71], v28, s[8:9] offset:480
	;; [unrolled: 1-line block ×3, first 2 shown]
	global_load_dwordx2 v[10:11], v[2:3], off
	v_mad_u64_u32 v[2:3], s[2:3], s12, v0, v[8:9]
	v_add_u32_e32 v3, s4, v3
	global_load_dwordx2 v[12:13], v[8:9], off
	global_load_dwordx2 v[14:15], v[2:3], off
	v_mad_u64_u32 v[2:3], s[2:3], s12, v0, v[2:3]
	v_add_u32_e32 v3, s4, v3
	global_load_dwordx2 v[68:69], v28, s[8:9] offset:960
	global_load_dwordx2 v[8:9], v[2:3], off
	v_mad_u64_u32 v[2:3], s[2:3], s12, v0, v[2:3]
	v_add_u32_e32 v3, s4, v3
	global_load_dwordx2 v[16:17], v[2:3], off
	v_mad_u64_u32 v[2:3], s[2:3], s12, v0, v[2:3]
	global_load_dwordx2 v[66:67], v28, s[8:9] offset:1200
	global_load_dwordx2 v[62:63], v28, s[8:9] offset:1440
	v_add_u32_e32 v3, s4, v3
	global_load_dwordx2 v[18:19], v[2:3], off
	global_load_dwordx2 v[58:59], v28, s[8:9] offset:1680
	v_mad_u64_u32 v[2:3], s[2:3], s12, v0, v[2:3]
	v_add_u32_e32 v3, s4, v3
	global_load_dwordx2 v[20:21], v[2:3], off
	global_load_dwordx2 v[56:57], v28, s[8:9] offset:1920
	v_mad_u64_u32 v[2:3], s[2:3], s12, v0, v[2:3]
	v_add_u32_e32 v3, s4, v3
	global_load_dwordx2 v[52:53], v28, s[8:9] offset:2160
	global_load_dwordx2 v[22:23], v[2:3], off
	v_and_b32_e32 v0, 1, v1
	v_mov_b32_e32 v1, 0x12c
	v_cmp_eq_u32_e32 vcc, 1, v0
	s_load_dwordx4 s[4:7], s[6:7], 0x0
	s_mov_b32 s14, 0x3f737871
	v_cndmask_b32_e32 v0, 0, v1, vcc
	v_lshlrev_b32_e32 v106, 3, v0
	v_add_u32_e32 v61, v106, v28
	v_add_u32_e32 v29, 0x400, v61
	s_mov_b32 s2, 0x3f167918
	s_mov_b32 s12, 0x3e9e377a
	s_mov_b32 s17, s14
	s_mov_b32 s20, 0xbf167918
	s_mov_b32 s21, s2
	v_cmp_gt_u16_e32 vcc, 10, v54
                                        ; implicit-def: $vgpr100
                                        ; implicit-def: $vgpr102
	s_waitcnt vmcnt(17)
	v_mul_f32_e32 v0, v5, v75
	v_mul_f32_e32 v1, v4, v75
	v_fmac_f32_e32 v0, v4, v74
	v_fma_f32 v1, v5, v74, -v1
	s_waitcnt vmcnt(16)
	v_mul_f32_e32 v2, v7, v73
	v_mul_f32_e32 v3, v6, v73
	v_fmac_f32_e32 v2, v6, v72
	v_fma_f32 v3, v7, v72, -v3
	ds_write2_b64 v61, v[0:1], v[2:3] offset1:30
	s_waitcnt vmcnt(13)
	v_mul_f32_e32 v0, v11, v71
	v_mul_f32_e32 v1, v10, v71
	s_waitcnt vmcnt(12)
	v_mul_f32_e32 v2, v13, v65
	v_mul_f32_e32 v3, v12, v65
	v_fmac_f32_e32 v0, v10, v70
	v_fma_f32 v1, v11, v70, -v1
	v_fmac_f32_e32 v2, v12, v64
	v_fma_f32 v3, v13, v64, -v3
	ds_write2_b64 v61, v[0:1], v[2:3] offset0:60 offset1:90
	s_waitcnt vmcnt(10)
	v_mul_f32_e32 v0, v15, v69
	v_mul_f32_e32 v1, v14, v69
	s_waitcnt vmcnt(7)
	v_mul_f32_e32 v2, v9, v67
	v_mul_f32_e32 v3, v8, v67
	v_fmac_f32_e32 v0, v14, v68
	v_fma_f32 v1, v15, v68, -v1
	v_fmac_f32_e32 v2, v8, v66
	v_fma_f32 v3, v9, v66, -v3
	ds_write2_b64 v61, v[0:1], v[2:3] offset0:120 offset1:150
	;; [unrolled: 11-line block ×4, first 2 shown]
	s_waitcnt lgkmcnt(0)
	; wave barrier
	s_waitcnt lgkmcnt(0)
	ds_read2_b64 v[0:3], v61 offset1:30
	ds_read2_b64 v[4:7], v61 offset0:60 offset1:90
	ds_read2_b64 v[8:11], v29 offset0:112 offset1:142
	;; [unrolled: 1-line block ×4, first 2 shown]
	s_waitcnt lgkmcnt(0)
	v_pk_add_f32 v[20:21], v[0:1], v[4:5]
	v_pk_add_f32 v[22:23], v[2:3], v[6:7]
	v_pk_add_f32 v[32:33], v[6:7], v[10:11] neg_lo:[0,1] neg_hi:[0,1]
	v_pk_add_f32 v[34:35], v[6:7], v[10:11]
	v_pk_add_f32 v[36:37], v[14:15], v[6:7] neg_lo:[0,1] neg_hi:[0,1]
	v_pk_add_f32 v[38:39], v[6:7], v[14:15] neg_lo:[0,1] neg_hi:[0,1]
	v_pk_add_f32 v[6:7], v[20:21], v[12:13]
	v_pk_add_f32 v[20:21], v[22:23], v[14:15]
	v_pk_add_f32 v[24:25], v[4:5], v[8:9] neg_lo:[0,1] neg_hi:[0,1]
	v_pk_add_f32 v[26:27], v[4:5], v[12:13] neg_lo:[0,1] neg_hi:[0,1]
	v_pk_add_f32 v[30:31], v[4:5], v[8:9]
	v_pk_add_f32 v[4:5], v[12:13], v[4:5] neg_lo:[0,1] neg_hi:[0,1]
	v_pk_add_f32 v[22:23], v[12:13], v[16:17]
	v_pk_add_f32 v[12:13], v[12:13], v[16:17] neg_lo:[0,1] neg_hi:[0,1]
	v_pk_add_f32 v[40:41], v[14:15], v[18:19] neg_lo:[0,1] neg_hi:[0,1]
	v_pk_add_f32 v[6:7], v[6:7], v[16:17]
	v_pk_add_f32 v[20:21], v[20:21], v[18:19]
	v_pk_add_f32 v[42:43], v[8:9], v[16:17] neg_lo:[0,1] neg_hi:[0,1]
	v_pk_add_f32 v[16:17], v[16:17], v[8:9] neg_lo:[0,1] neg_hi:[0,1]
	v_pk_add_f32 v[14:15], v[14:15], v[18:19]
	v_pk_add_f32 v[44:45], v[18:19], v[10:11] neg_lo:[0,1] neg_hi:[0,1]
	v_pk_add_f32 v[18:19], v[10:11], v[18:19] neg_lo:[0,1] neg_hi:[0,1]
	v_pk_add_f32 v[10:11], v[20:21], v[10:11]
	v_pk_add_f32 v[4:5], v[4:5], v[16:17]
	v_pk_fma_f32 v[16:17], v[34:35], 0.5, v[2:3] op_sel_hi:[1,0,1] neg_lo:[1,0,0] neg_hi:[1,0,0]
	v_pk_mul_f32 v[20:21], v[40:41], s[14:15] op_sel_hi:[1,0]
	v_pk_add_f32 v[8:9], v[6:7], v[8:9]
	v_pk_add_f32 v[34:35], v[16:17], v[20:21] op_sel:[0,1] op_sel_hi:[1,0] neg_lo:[0,1] neg_hi:[0,1]
	v_pk_add_f32 v[16:17], v[16:17], v[20:21] op_sel:[0,1] op_sel_hi:[1,0]
	v_pk_mul_f32 v[20:21], v[32:33], s[2:3] op_sel_hi:[1,0]
	v_pk_add_f32 v[6:7], v[36:37], v[44:45]
	v_pk_add_f32 v[16:17], v[16:17], v[20:21] op_sel:[0,1] op_sel_hi:[1,0] neg_lo:[0,1] neg_hi:[0,1]
	v_pk_add_f32 v[20:21], v[34:35], v[20:21] op_sel:[0,1] op_sel_hi:[1,0]
	v_mov_b32_e32 v35, v17
	v_mov_b32_e32 v34, v20
	v_pk_fma_f32 v[34:35], v[6:7], s[12:13], v[34:35] op_sel_hi:[1,0,1]
	v_pk_fma_f32 v[30:31], v[30:31], 0.5, v[0:1] op_sel_hi:[1,0,1] neg_lo:[1,0,0] neg_hi:[1,0,0]
	v_pk_mul_f32 v[36:37], v[34:35], s[14:15] op_sel_hi:[1,0]
	v_mov_b32_e32 v17, v21
	v_pk_fma_f32 v[44:45], v[34:35], s[12:13], v[36:37] op_sel:[0,0,1] op_sel_hi:[1,0,0]
	v_pk_fma_f32 v[34:35], v[34:35], s[12:13], v[36:37] op_sel:[0,0,1] op_sel_hi:[1,0,0] neg_lo:[0,0,1] neg_hi:[0,0,1]
	v_pk_fma_f32 v[6:7], v[6:7], s[12:13], v[16:17] op_sel_hi:[1,0,1]
	v_mov_b32_e32 v45, v35
	v_pk_mul_f32 v[34:35], v[12:13], s[14:15] op_sel_hi:[1,0]
	v_pk_mul_f32 v[16:17], v[6:7], s[12:13] op_sel_hi:[1,0]
	v_pk_add_f32 v[36:37], v[30:31], v[34:35] op_sel:[0,1] op_sel_hi:[1,0] neg_lo:[0,1] neg_hi:[0,1]
	v_pk_add_f32 v[30:31], v[30:31], v[34:35] op_sel:[0,1] op_sel_hi:[1,0]
	v_pk_mul_f32 v[34:35], v[24:25], s[2:3] op_sel_hi:[1,0]
	v_pk_fma_f32 v[16:17], v[6:7], s[16:17], v[16:17] op_sel:[0,0,1] op_sel_hi:[1,1,0] neg_lo:[0,0,1] neg_hi:[0,0,1]
	v_pk_add_f32 v[30:31], v[30:31], v[34:35] op_sel:[0,1] op_sel_hi:[1,0] neg_lo:[0,1] neg_hi:[0,1]
	v_pk_add_f32 v[34:35], v[36:37], v[34:35] op_sel:[0,1] op_sel_hi:[1,0]
	v_mov_b32_e32 v7, v31
	v_mov_b32_e32 v6, v34
	;; [unrolled: 1-line block ×3, first 2 shown]
	v_pk_fma_f32 v[20:21], v[4:5], s[12:13], v[6:7] op_sel_hi:[1,0,1]
	v_pk_fma_f32 v[30:31], v[4:5], s[12:13], v[30:31] op_sel_hi:[1,0,1]
	v_mul_lo_u16_e32 v4, 10, v54
	v_lshl_add_u32 v101, v4, 3, v106
	v_pk_add_f32 v[4:5], v[20:21], v[44:45]
	v_pk_add_f32 v[6:7], v[30:31], v[16:17] op_sel:[0,1] op_sel_hi:[1,0]
	; wave barrier
	ds_write_b128 v101, v[4:7] offset:16
	v_pk_fma_f32 v[0:1], v[22:23], 0.5, v[0:1] op_sel_hi:[1,0,1] neg_lo:[1,0,0] neg_hi:[1,0,0]
	v_pk_mul_f32 v[6:7], v[24:25], s[14:15] op_sel_hi:[1,0]
	v_pk_fma_f32 v[2:3], v[14:15], 0.5, v[2:3] op_sel_hi:[1,0,1] neg_lo:[1,0,0] neg_hi:[1,0,0]
	v_pk_add_f32 v[14:15], v[0:1], v[6:7] op_sel:[0,1] op_sel_hi:[1,0]
	v_pk_add_f32 v[0:1], v[0:1], v[6:7] op_sel:[0,1] op_sel_hi:[1,0] neg_lo:[0,1] neg_hi:[0,1]
	v_pk_mul_f32 v[6:7], v[12:13], s[2:3] op_sel_hi:[1,0]
	v_pk_add_f32 v[4:5], v[26:27], v[42:43]
	v_pk_add_f32 v[12:13], v[0:1], v[6:7] op_sel:[0,1] op_sel_hi:[1,0] neg_lo:[0,1] neg_hi:[0,1]
	v_pk_add_f32 v[0:1], v[14:15], v[6:7] op_sel:[0,1] op_sel_hi:[1,0]
	v_mov_b32_e32 v7, v13
	v_mov_b32_e32 v6, v0
	;; [unrolled: 1-line block ×3, first 2 shown]
	v_pk_fma_f32 v[6:7], v[4:5], s[12:13], v[6:7] op_sel_hi:[1,0,1]
	v_pk_fma_f32 v[4:5], v[4:5], s[12:13], v[12:13] op_sel_hi:[1,0,1]
	v_pk_mul_f32 v[12:13], v[32:33], s[14:15] op_sel_hi:[1,0]
	v_pk_add_f32 v[14:15], v[38:39], v[18:19]
	v_pk_add_f32 v[18:19], v[2:3], v[12:13] op_sel:[0,1] op_sel_hi:[1,0]
	v_pk_mul_f32 v[22:23], v[40:41], s[2:3] op_sel_hi:[1,0]
	v_pk_add_f32 v[2:3], v[2:3], v[12:13] op_sel:[0,1] op_sel_hi:[1,0] neg_lo:[0,1] neg_hi:[0,1]
	v_pk_add_f32 v[18:19], v[22:23], v[18:19] op_sel:[1,0] op_sel_hi:[0,1]
	v_pk_add_f32 v[2:3], v[2:3], v[22:23] op_sel:[0,1] op_sel_hi:[1,0] neg_lo:[0,1] neg_hi:[0,1]
	v_pk_fma_f32 v[12:13], v[14:15], s[12:13], v[18:19] op_sel_hi:[1,0,1]
	v_pk_fma_f32 v[22:23], v[14:15], s[12:13], v[2:3] op_sel_hi:[1,0,1]
	v_mov_b32_e32 v3, v19
	v_pk_fma_f32 v[2:3], v[14:15], s[12:13], v[2:3] op_sel_hi:[1,0,1]
	s_mov_b32 s3, s18
	v_pk_mul_f32 v[14:15], v[2:3], s[18:19] op_sel_hi:[1,0]
	s_mov_b32 s19, s2
	v_pk_fma_f32 v[14:15], v[2:3], s[20:21], v[14:15] op_sel:[0,0,1] op_sel_hi:[1,1,0] neg_lo:[0,0,1] neg_hi:[0,0,1]
	v_pk_mul_f32 v[2:3], v[12:13], s[18:19] op_sel_hi:[0,1]
	v_pk_fma_f32 v[12:13], v[22:23], s[2:3], v[2:3] op_sel:[1,0,0]
	v_pk_fma_f32 v[2:3], v[22:23], s[2:3], v[2:3] op_sel:[1,0,0] neg_lo:[0,0,1] neg_hi:[0,0,1]
	v_pk_add_f32 v[0:1], v[8:9], v[10:11]
	v_mov_b32_e32 v13, v3
	v_pk_add_f32 v[2:3], v[6:7], v[12:13]
	v_pk_add_f32 v[18:19], v[4:5], v[14:15] op_sel:[1,0] op_sel_hi:[0,1]
	ds_write_b128 v101, v[0:3]
	v_pk_add_f32 v[2:3], v[8:9], v[10:11] neg_lo:[0,1] neg_hi:[0,1]
	v_mov_b32_e32 v0, v19
	v_mov_b32_e32 v1, v18
	ds_write_b128 v101, v[0:3] offset:32
	v_pk_add_f32 v[0:1], v[6:7], v[12:13] neg_lo:[0,1] neg_hi:[0,1]
	v_pk_add_f32 v[2:3], v[20:21], v[44:45] neg_lo:[0,1] neg_hi:[0,1]
	v_pk_add_f32 v[4:5], v[4:5], v[14:15] op_sel:[1,0] op_sel_hi:[0,1] neg_lo:[0,1] neg_hi:[0,1]
	ds_write_b128 v101, v[0:3] offset:48
	v_pk_add_f32 v[0:1], v[30:31], v[16:17] op_sel:[0,1] op_sel_hi:[1,0] neg_lo:[0,1] neg_hi:[0,1]
	v_mov_b32_e32 v2, v5
	v_mov_b32_e32 v3, v4
	s_movk_i32 s3, 0xcd
	ds_write_b128 v101, v[0:3] offset:64
	v_mul_lo_u16_sdwa v0, v54, s3 dst_sel:DWORD dst_unused:UNUSED_PAD src0_sel:BYTE_0 src1_sel:DWORD
	v_lshrrev_b16_e32 v79, 11, v0
	v_mul_lo_u16_e32 v0, 10, v79
	v_sub_u16_e32 v0, v54, v0
	v_and_b32_e32 v81, 0xff, v0
	s_movk_i32 s3, 0x48
	v_mov_b64_e32 v[0:1], s[10:11]
	v_mad_u64_u32 v[16:17], s[22:23], v81, s3, v[0:1]
	s_waitcnt lgkmcnt(0)
	; wave barrier
	s_waitcnt lgkmcnt(0)
	global_load_dwordx4 v[4:7], v[16:17], off
	global_load_dwordx4 v[0:3], v[16:17], off offset:16
	global_load_dwordx4 v[8:11], v[16:17], off offset:32
	;; [unrolled: 1-line block ×3, first 2 shown]
	global_load_dwordx2 v[76:77], v[16:17], off offset:64
	ds_read2_b64 v[16:19], v61 offset0:60 offset1:90
	ds_read2_b64 v[20:23], v61 offset0:120 offset1:150
	s_waitcnt vmcnt(4)
	v_mov_b32_e32 v78, v7
	s_waitcnt lgkmcnt(1)
	v_pk_mul_f32 v[24:25], v[16:17], v[78:79] op_sel_hi:[1,0]
	s_waitcnt vmcnt(3)
	v_mov_b32_e32 v80, v3
	v_pk_fma_f32 v[26:27], v[16:17], v[6:7], v[24:25] op_sel:[0,0,1] op_sel_hi:[1,1,0] neg_lo:[0,0,1] neg_hi:[0,0,1]
	v_pk_fma_f32 v[24:25], v[16:17], v[6:7], v[24:25] op_sel:[0,0,1] op_sel_hi:[1,0,0]
	v_pk_mul_f32 v[16:17], v[18:19], v[0:1] op_sel:[0,1]
	s_waitcnt vmcnt(2)
	v_mov_b32_e32 v82, v11
	v_pk_fma_f32 v[30:31], v[18:19], v[0:1], v[16:17] op_sel:[0,0,1] op_sel_hi:[1,1,0] neg_lo:[0,0,1] neg_hi:[0,0,1]
	v_pk_fma_f32 v[32:33], v[18:19], v[0:1], v[16:17] op_sel:[0,0,1] op_sel_hi:[1,0,0]
	s_waitcnt lgkmcnt(0)
	v_pk_mul_f32 v[16:17], v[20:21], v[80:81] op_sel_hi:[1,0]
	s_waitcnt vmcnt(1)
	v_mov_b32_e32 v84, v15
	v_pk_fma_f32 v[34:35], v[20:21], v[2:3], v[16:17] op_sel:[0,0,1] op_sel_hi:[1,1,0] neg_lo:[0,0,1] neg_hi:[0,0,1]
	v_pk_fma_f32 v[36:37], v[20:21], v[2:3], v[16:17] op_sel:[0,0,1] op_sel_hi:[1,0,0]
	ds_read2_b64 v[16:19], v61 offset0:180 offset1:210
	v_pk_mul_f32 v[20:21], v[22:23], v[8:9] op_sel:[0,1]
	v_mov_b32_e32 v27, v25
	v_pk_fma_f32 v[38:39], v[22:23], v[8:9], v[20:21] op_sel:[0,0,1] op_sel_hi:[1,1,0] neg_lo:[0,0,1] neg_hi:[0,0,1]
	v_pk_fma_f32 v[40:41], v[22:23], v[8:9], v[20:21] op_sel:[0,0,1] op_sel_hi:[1,0,0]
	s_waitcnt lgkmcnt(0)
	v_pk_mul_f32 v[20:21], v[16:17], v[82:83] op_sel_hi:[1,0]
	v_pk_mul_f32 v[44:45], v[18:19], v[12:13] op_sel:[0,1]
	v_pk_fma_f32 v[42:43], v[16:17], v[10:11], v[20:21] op_sel:[0,0,1] op_sel_hi:[1,1,0] neg_lo:[0,0,1] neg_hi:[0,0,1]
	v_pk_fma_f32 v[16:17], v[16:17], v[10:11], v[20:21] op_sel:[0,0,1] op_sel_hi:[1,0,0]
	ds_read2_b64 v[20:23], v29 offset0:112 offset1:142
	v_pk_fma_f32 v[46:47], v[18:19], v[12:13], v[44:45] op_sel:[0,0,1] op_sel_hi:[1,1,0] neg_lo:[0,0,1] neg_hi:[0,0,1]
	v_pk_fma_f32 v[44:45], v[18:19], v[12:13], v[44:45] op_sel:[0,0,1] op_sel_hi:[1,0,0]
	v_mov_b32_e32 v43, v17
	v_mov_b32_e32 v35, v37
	s_waitcnt lgkmcnt(0)
	v_pk_mul_f32 v[18:19], v[20:21], v[84:85] op_sel_hi:[1,0]
	v_mov_b32_e32 v39, v41
	v_pk_fma_f32 v[48:49], v[20:21], v[14:15], v[18:19] op_sel:[0,0,1] op_sel_hi:[1,1,0] neg_lo:[0,0,1] neg_hi:[0,0,1]
	v_pk_fma_f32 v[20:21], v[20:21], v[14:15], v[18:19] op_sel:[0,0,1] op_sel_hi:[1,0,0]
	s_waitcnt vmcnt(0)
	v_pk_mul_f32 v[18:19], v[22:23], v[76:77] op_sel:[0,1]
	v_mov_b32_e32 v49, v21
	v_pk_fma_f32 v[50:51], v[22:23], v[76:77], v[18:19] op_sel:[0,0,1] op_sel_hi:[1,1,0] neg_lo:[0,0,1] neg_hi:[0,0,1]
	v_pk_fma_f32 v[22:23], v[22:23], v[76:77], v[18:19] op_sel:[0,0,1] op_sel_hi:[1,0,0]
	ds_read2_b64 v[16:19], v61 offset1:30
	v_pk_add_f32 v[20:21], v[26:27], v[34:35] neg_lo:[0,1] neg_hi:[0,1]
	v_pk_add_f32 v[24:25], v[48:49], v[42:43] neg_lo:[0,1] neg_hi:[0,1]
	v_mov_b32_e32 v47, v45
	v_pk_add_f32 v[20:21], v[20:21], v[24:25]
	s_waitcnt lgkmcnt(0)
	v_pk_mul_f32 v[24:25], v[18:19], v[4:5] op_sel:[0,1]
	v_mov_b32_e32 v31, v33
	v_pk_fma_f32 v[36:37], v[18:19], v[4:5], v[24:25] op_sel:[0,0,1] op_sel_hi:[1,1,0] neg_lo:[0,0,1] neg_hi:[0,0,1]
	v_pk_fma_f32 v[18:19], v[18:19], v[4:5], v[24:25] op_sel:[0,0,1] op_sel_hi:[1,0,0]
	v_mov_b32_e32 v51, v23
	v_mov_b32_e32 v37, v19
	v_pk_add_f32 v[44:45], v[38:39], v[46:47]
	v_pk_add_f32 v[18:19], v[30:31], v[38:39] neg_lo:[0,1] neg_hi:[0,1]
	v_pk_add_f32 v[22:23], v[50:51], v[46:47] neg_lo:[0,1] neg_hi:[0,1]
	v_pk_fma_f32 v[44:45], v[44:45], 0.5, v[36:37] op_sel_hi:[1,0,1] neg_lo:[1,0,0] neg_hi:[1,0,0]
	v_pk_add_f32 v[86:87], v[30:31], v[50:51] neg_lo:[0,1] neg_hi:[0,1]
	v_pk_add_f32 v[18:19], v[18:19], v[22:23]
	v_pk_add_f32 v[22:23], v[34:35], v[42:43]
	v_pk_fma_f32 v[88:89], v[86:87], s[14:15], v[44:45] op_sel:[0,0,1] op_sel_hi:[1,0,0]
	v_pk_fma_f32 v[44:45], v[86:87], s[14:15], v[44:45] op_sel:[0,0,1] op_sel_hi:[1,0,0] neg_lo:[1,0,0] neg_hi:[1,0,0]
	v_pk_add_f32 v[90:91], v[38:39], v[46:47] neg_lo:[0,1] neg_hi:[0,1]
	v_pk_fma_f32 v[22:23], v[22:23], 0.5, v[16:17] op_sel_hi:[1,0,1] neg_lo:[1,0,0] neg_hi:[1,0,0]
	v_pk_add_f32 v[24:25], v[26:27], v[48:49] neg_lo:[0,1] neg_hi:[0,1]
	v_pk_fma_f32 v[44:45], v[90:91], s[2:3], v[44:45] op_sel_hi:[1,0,1] neg_lo:[1,0,0] neg_hi:[1,0,0]
	v_pk_fma_f32 v[88:89], v[90:91], s[2:3], v[88:89] op_sel_hi:[1,0,1]
	v_pk_fma_f32 v[32:33], v[24:25], s[14:15], v[22:23] op_sel:[1,0,0] op_sel_hi:[0,0,1] neg_lo:[1,0,0] neg_hi:[1,0,0]
	v_pk_fma_f32 v[22:23], v[24:25], s[14:15], v[22:23] op_sel:[1,0,0] op_sel_hi:[0,0,1]
	v_pk_add_f32 v[40:41], v[34:35], v[42:43] neg_lo:[0,1] neg_hi:[0,1]
	v_pk_mul_f32 v[18:19], v[18:19], s[12:13] op_sel_hi:[1,0]
	v_mov_b32_e32 v93, v45
	v_mov_b32_e32 v45, v89
	v_pk_fma_f32 v[22:23], v[40:41], s[2:3], v[22:23] op_sel:[1,0,0] op_sel_hi:[0,0,1]
	v_pk_fma_f32 v[32:33], v[40:41], s[2:3], v[32:33] op_sel:[1,0,0] op_sel_hi:[0,0,1] neg_lo:[1,0,0] neg_hi:[1,0,0]
	s_mov_b32 s3, s20
	v_pk_add_f32 v[44:45], v[18:19], v[44:45] op_sel:[1,0] op_sel_hi:[0,1]
	v_pk_mul_f32 v[94:95], v[44:45], s[2:3] op_sel_hi:[1,0]
	v_mul_u32_u24_e32 v3, 0x64, v79
	v_pk_fma_f32 v[96:97], v[44:45], s[18:19], v[94:95] op_sel:[0,0,1] op_sel_hi:[1,0,0]
	v_pk_fma_f32 v[44:45], v[44:45], s[18:19], v[94:95] op_sel:[0,0,1] op_sel_hi:[1,0,0] neg_lo:[0,0,1] neg_hi:[0,0,1]
	v_mov_b32_e32 v94, v97
	v_mov_b32_e32 v95, v44
	v_pk_add_f32 v[44:45], v[36:37], v[30:31]
	v_pk_add_f32 v[96:97], v[16:17], v[26:27]
	;; [unrolled: 1-line block ×6, first 2 shown]
	v_mov_b32_e32 v99, v23
	v_mov_b32_e32 v23, v33
	v_add_u32_e32 v3, v3, v81
	v_pk_add_f32 v[44:45], v[44:45], v[50:51]
	v_pk_add_f32 v[96:97], v[96:97], v[48:49]
	v_pk_fma_f32 v[22:23], v[20:21], s[12:13], v[22:23] op_sel_hi:[1,0,1]
	v_lshl_add_u32 v103, v3, 3, v106
	v_pk_add_f32 v[104:105], v[96:97], v[44:45]
	v_pk_add_f32 v[108:109], v[22:23], v[94:95]
	s_waitcnt lgkmcnt(0)
	; wave barrier
	ds_write2_b64 v103, v[104:105], v[108:109] offset1:10
	v_pk_add_f32 v[104:105], v[26:27], v[48:49]
	v_pk_add_f32 v[26:27], v[34:35], v[26:27] neg_lo:[0,1] neg_hi:[0,1]
	v_pk_fma_f32 v[16:17], v[104:105], 0.5, v[16:17] op_sel_hi:[1,0,1] neg_lo:[1,0,0] neg_hi:[1,0,0]
	v_pk_add_f32 v[34:35], v[42:43], v[48:49] neg_lo:[0,1] neg_hi:[0,1]
	v_mov_b32_e32 v92, v88
	v_pk_add_f32 v[26:27], v[26:27], v[34:35]
	v_pk_fma_f32 v[34:35], v[40:41], s[14:15], v[16:17] op_sel:[1,0,0] op_sel_hi:[0,0,1] neg_lo:[1,0,0] neg_hi:[1,0,0]
	v_pk_fma_f32 v[16:17], v[40:41], s[14:15], v[16:17] op_sel:[1,0,0] op_sel_hi:[0,0,1]
	v_pk_fma_f32 v[16:17], v[24:25], s[2:3], v[16:17] op_sel:[1,0,0] op_sel_hi:[0,0,1] neg_lo:[1,0,0] neg_hi:[1,0,0]
	v_pk_fma_f32 v[24:25], v[24:25], s[2:3], v[34:35] op_sel:[1,0,0] op_sel_hi:[0,0,1]
	v_pk_add_f32 v[34:35], v[30:31], v[50:51]
	v_pk_add_f32 v[30:31], v[38:39], v[30:31] neg_lo:[0,1] neg_hi:[0,1]
	v_pk_fma_f32 v[34:35], v[34:35], 0.5, v[36:37] op_sel_hi:[1,0,1] neg_lo:[1,0,0] neg_hi:[1,0,0]
	v_pk_add_f32 v[36:37], v[46:47], v[50:51] neg_lo:[0,1] neg_hi:[0,1]
	v_pk_add_f32 v[18:19], v[18:19], v[92:93] op_sel:[1,0] op_sel_hi:[0,1]
	v_pk_add_f32 v[30:31], v[30:31], v[36:37]
	v_pk_mul_f32 v[36:37], v[90:91], s[14:15] op_sel_hi:[1,0]
	v_mov_b32_e32 v98, v32
	v_pk_add_f32 v[38:39], v[34:35], v[36:37] op_sel:[0,1] op_sel_hi:[1,0] neg_lo:[0,1] neg_hi:[0,1]
	v_pk_add_f32 v[34:35], v[34:35], v[36:37] op_sel:[0,1] op_sel_hi:[1,0]
	v_pk_mul_f32 v[36:37], v[86:87], s[2:3] op_sel_hi:[1,0]
	v_pk_fma_f32 v[20:21], v[20:21], s[12:13], v[98:99] op_sel_hi:[1,0,1]
	v_pk_add_f32 v[34:35], v[34:35], v[36:37] op_sel:[0,1] op_sel_hi:[1,0] neg_lo:[0,1] neg_hi:[0,1]
	v_pk_add_f32 v[36:37], v[38:39], v[36:37] op_sel:[0,1] op_sel_hi:[1,0]
	v_mov_b32_e32 v39, v35
	v_mov_b32_e32 v38, v36
	v_pk_fma_f32 v[38:39], v[30:31], s[12:13], v[38:39] op_sel_hi:[1,0,1]
	v_mov_b32_e32 v35, v37
	v_pk_mul_f32 v[40:41], v[38:39], s[14:15] op_sel_hi:[1,0]
	v_pk_add_f32 v[22:23], v[22:23], v[94:95] neg_lo:[0,1] neg_hi:[0,1]
	v_pk_fma_f32 v[42:43], v[38:39], s[12:13], v[40:41] op_sel:[0,0,1] op_sel_hi:[1,0,0]
	v_pk_fma_f32 v[38:39], v[38:39], s[12:13], v[40:41] op_sel:[0,0,1] op_sel_hi:[1,0,0] neg_lo:[0,0,1] neg_hi:[0,0,1]
	v_mov_b32_e32 v29, v55
	v_mov_b32_e32 v43, v39
	;; [unrolled: 1-line block ×5, first 2 shown]
	v_pk_fma_f32 v[24:25], v[26:27], s[12:13], v[38:39] op_sel_hi:[1,0,1]
	v_pk_fma_f32 v[16:17], v[26:27], s[12:13], v[16:17] op_sel_hi:[1,0,1]
	;; [unrolled: 1-line block ×3, first 2 shown]
	v_mov_b32_e32 v86, v13
	v_pk_mul_f32 v[30:31], v[26:27], s[12:13] op_sel_hi:[1,0]
	v_mov_b32_e32 v88, v9
	v_pk_fma_f32 v[26:27], v[26:27], s[16:17], v[30:31] op_sel:[0,0,1] op_sel_hi:[1,1,0] neg_lo:[0,0,1] neg_hi:[0,0,1]
	v_pk_add_f32 v[30:31], v[24:25], v[42:43]
	v_pk_add_f32 v[34:35], v[16:17], v[26:27] op_sel:[0,1] op_sel_hi:[1,0]
	ds_write2_b64 v103, v[30:31], v[34:35] offset0:20 offset1:30
	v_pk_mul_f32 v[30:31], v[18:19], s[18:19] op_sel_hi:[1,0]
	v_pk_add_f32 v[24:25], v[24:25], v[42:43] neg_lo:[0,1] neg_hi:[0,1]
	v_pk_fma_f32 v[18:19], v[18:19], s[2:3], v[30:31] op_sel:[0,0,1] op_sel_hi:[1,1,0] neg_lo:[0,0,1] neg_hi:[0,0,1]
	v_pk_add_f32 v[30:31], v[96:97], v[44:45] neg_lo:[0,1] neg_hi:[0,1]
	v_pk_add_f32 v[32:33], v[20:21], v[18:19]
	ds_write2_b64 v103, v[32:33], v[30:31] offset0:40 offset1:50
	v_pk_add_f32 v[16:17], v[16:17], v[26:27] op_sel:[0,1] op_sel_hi:[1,0] neg_lo:[0,1] neg_hi:[0,1]
	v_pk_add_f32 v[32:33], v[20:21], v[18:19] neg_lo:[0,1] neg_hi:[0,1]
	ds_write2_b64 v103, v[22:23], v[24:25] offset0:60 offset1:70
	ds_write2_b64 v103, v[16:17], v[32:33] offset0:80 offset1:90
	s_waitcnt lgkmcnt(0)
	; wave barrier
	s_waitcnt lgkmcnt(0)
	ds_read_b64 v[96:97], v61 offset:2080
	ds_read2_b64 v[44:47], v61 offset1:30
	ds_read2_b64 v[36:39], v61 offset0:60 offset1:100
	ds_read2_b64 v[48:51], v61 offset0:200 offset1:230
	;; [unrolled: 1-line block ×3, first 2 shown]
	s_load_dwordx2 s[2:3], s[0:1], 0x38
	v_cmp_lt_u16_e64 s[0:1], 9, v54
	v_mov_b32_e32 v90, v1
	v_mov_b32_e32 v92, v5
                                        ; implicit-def: $vgpr98
	s_and_saveexec_b64 s[12:13], vcc
	s_cbranch_execz .LBB0_3
; %bb.2:
	ds_read2_b64 v[32:35], v61 offset0:90 offset1:190
	ds_read_b64 v[98:99], v61 offset:2320
	s_waitcnt lgkmcnt(0)
	v_mov_b32_e32 v100, v35
	v_mov_b32_e32 v102, v99
.LBB0_3:
	s_or_b64 exec, exec, s[12:13]
	v_lshlrev_b32_e32 v1, 4, v54
	s_mov_b64 s[12:13], 0x5a
	global_load_dwordx4 v[20:23], v1, s[10:11] offset:720
	v_add_u32_e32 v3, 0x1e0, v1
	global_load_dwordx4 v[24:27], v3, s[10:11] offset:720
	v_lshl_add_u64 v[16:17], v[54:55], 0, -10
	v_lshl_add_u64 v[18:19], v[54:55], 0, s[12:13]
	v_cndmask_b32_e32 v17, v17, v19, vcc
	v_cndmask_b32_e32 v16, v16, v18, vcc
	v_lshl_add_u64 v[16:17], v[16:17], 4, s[10:11]
	global_load_dwordx4 v[16:19], v[16:17], off offset:720
	v_add_u32_e32 v1, 0x3c0, v1
	v_lshl_add_u64 v[104:105], s[8:9], 0, v[28:29]
	global_load_dwordx4 v[28:31], v1, s[10:11] offset:720
	v_lshl_add_u32 v55, v54, 3, v106
	s_mov_b32 s10, 0x3f5db3d7
	v_mov_b32_e32 v7, v6
	v_mov_b32_e32 v79, v78
	;; [unrolled: 1-line block ×19, first 2 shown]
	s_waitcnt vmcnt(3) lgkmcnt(0)
	v_pk_mul_f32 v[106:107], v[38:39], v[20:21] op_sel:[0,1]
	v_mov_b32_e32 v108, v23
	v_pk_mul_f32 v[108:109], v[48:49], v[108:109] op_sel_hi:[1,0]
	v_pk_fma_f32 v[112:113], v[38:39], v[20:21], v[106:107] op_sel:[0,0,1] op_sel_hi:[1,1,0] neg_lo:[0,0,1] neg_hi:[0,0,1]
	v_pk_fma_f32 v[38:39], v[38:39], v[20:21], v[106:107] op_sel:[0,0,1] op_sel_hi:[1,0,0]
	s_waitcnt vmcnt(2)
	v_pk_mul_f32 v[106:107], v[40:41], v[24:25] op_sel:[0,1]
	v_mov_b32_e32 v110, v27
	v_pk_fma_f32 v[114:115], v[48:49], v[22:23], v[108:109] op_sel:[0,0,1] op_sel_hi:[1,1,0] neg_lo:[0,0,1] neg_hi:[0,0,1]
	v_pk_fma_f32 v[48:49], v[48:49], v[22:23], v[108:109] op_sel:[0,0,1] op_sel_hi:[1,0,0]
	v_mov_b32_e32 v113, v39
	v_pk_fma_f32 v[38:39], v[40:41], v[24:25], v[106:107] op_sel:[0,0,1] op_sel_hi:[1,1,0] neg_lo:[0,0,1] neg_hi:[0,0,1]
	v_pk_fma_f32 v[40:41], v[40:41], v[24:25], v[106:107] op_sel:[0,0,1] op_sel_hi:[1,0,0]
	v_pk_mul_f32 v[108:109], v[50:51], v[110:111] op_sel_hi:[1,0]
	v_mov_b32_e32 v115, v49
	s_waitcnt vmcnt(1)
	v_pk_mul_f32 v[34:35], v[34:35], v[16:17] op_sel_hi:[0,1]
	v_pk_mul_f32 v[48:49], v[98:99], v[18:19] op_sel_hi:[0,1]
	v_mov_b32_e32 v39, v41
	v_pk_add_f32 v[40:41], v[44:45], v[112:113]
	v_pk_fma_f32 v[106:107], v[50:51], v[26:27], v[108:109] op_sel:[0,0,1] op_sel_hi:[1,1,0] neg_lo:[0,0,1] neg_hi:[0,0,1]
	v_pk_fma_f32 v[50:51], v[50:51], v[26:27], v[108:109] op_sel:[0,0,1] op_sel_hi:[1,0,0]
	v_pk_fma_f32 v[98:99], v[100:101], v[16:17], v[34:35] op_sel:[0,0,1] op_sel_hi:[0,1,0]
	v_pk_fma_f32 v[34:35], v[100:101], v[16:17], v[34:35] op_sel:[0,0,1] op_sel_hi:[0,1,0] neg_lo:[1,0,0] neg_hi:[1,0,0]
	v_pk_fma_f32 v[108:109], v[102:103], v[18:19], v[48:49] op_sel:[0,0,1] op_sel_hi:[0,1,0]
	v_pk_fma_f32 v[48:49], v[102:103], v[18:19], v[48:49] op_sel:[0,0,1] op_sel_hi:[0,1,0] neg_lo:[1,0,0] neg_hi:[1,0,0]
	v_pk_add_f32 v[110:111], v[40:41], v[114:115]
	v_pk_add_f32 v[40:41], v[112:113], v[114:115]
	v_pk_add_f32 v[112:113], v[112:113], v[114:115] neg_lo:[0,1] neg_hi:[0,1]
	v_pk_fma_f32 v[40:41], v[40:41], 0.5, v[44:45] op_sel_hi:[1,0,1] neg_lo:[1,0,0] neg_hi:[1,0,0]
	v_mov_b32_e32 v99, v35
	v_mov_b32_e32 v109, v49
	;; [unrolled: 1-line block ×3, first 2 shown]
	v_pk_mul_f32 v[48:49], v[112:113], s[10:11] op_sel_hi:[1,0]
	v_mov_b32_e32 v107, v51
	v_pk_add_f32 v[50:51], v[46:47], v[38:39]
	v_mov_b32_e32 v34, v35
	v_mov_b32_e32 v35, v98
	v_mov_b32_e32 v45, v108
	v_pk_add_f32 v[98:99], v[98:99], v[108:109] neg_lo:[0,1] neg_hi:[0,1]
	v_pk_add_f32 v[108:109], v[40:41], v[48:49] op_sel:[0,1] op_sel_hi:[1,0]
	v_pk_add_f32 v[48:49], v[40:41], v[48:49] op_sel:[0,1] op_sel_hi:[1,0] neg_lo:[0,1] neg_hi:[0,1]
	v_pk_add_f32 v[114:115], v[38:39], v[106:107]
	v_pk_add_f32 v[50:51], v[50:51], v[106:107]
	v_pk_add_f32 v[106:107], v[38:39], v[106:107] neg_lo:[0,1] neg_hi:[0,1]
	v_mov_b32_e32 v112, v108
	v_mov_b32_e32 v113, v49
	;; [unrolled: 1-line block ×3, first 2 shown]
	v_pk_fma_f32 v[46:47], v[114:115], 0.5, v[46:47] op_sel_hi:[1,0,1] neg_lo:[1,0,0] neg_hi:[1,0,0]
	ds_write_b64 v55, v[112:113] offset:800
	ds_write_b64 v55, v[48:49] offset:1600
	ds_write2_b64 v61, v[110:111], v[50:51] offset1:30
	v_pk_mul_f32 v[48:49], v[106:107], s[10:11] op_sel_hi:[1,0]
	v_pk_add_f32 v[38:39], v[34:35], v[44:45]
	v_pk_add_f32 v[50:51], v[46:47], v[48:49] op_sel:[0,1] op_sel_hi:[1,0]
	v_pk_add_f32 v[46:47], v[46:47], v[48:49] op_sel:[0,1] op_sel_hi:[1,0] neg_lo:[0,1] neg_hi:[0,1]
	v_mov_b32_e32 v48, v50
	v_mov_b32_e32 v49, v47
	;; [unrolled: 1-line block ×3, first 2 shown]
	ds_write_b64 v55, v[46:47] offset:1840
	s_waitcnt vmcnt(0)
	v_pk_mul_f32 v[46:47], v[42:43], v[28:29] op_sel:[0,1]
	ds_write_b64 v55, v[48:49] offset:1040
	v_pk_fma_f32 v[48:49], v[42:43], v[28:29], v[46:47] op_sel:[0,0,1] op_sel_hi:[1,1,0] neg_lo:[0,0,1] neg_hi:[0,0,1]
	v_pk_fma_f32 v[42:43], v[42:43], v[28:29], v[46:47] op_sel:[0,0,1] op_sel_hi:[1,0,0]
	v_pk_fma_f32 v[40:41], v[38:39], 0.5, v[32:33] op_sel_hi:[1,0,1] neg_lo:[1,0,0] neg_hi:[1,0,0]
	v_mov_b32_e32 v42, v31
	v_mov_b32_e32 v49, v43
	v_pk_mul_f32 v[42:43], v[96:97], v[42:43] op_sel_hi:[1,0]
	v_pk_fma_f32 v[38:39], v[98:99], s[10:11], v[40:41] op_sel_hi:[1,0,1] neg_lo:[1,0,0] neg_hi:[1,0,0]
	v_pk_fma_f32 v[46:47], v[96:97], v[30:31], v[42:43] op_sel:[0,0,1] op_sel_hi:[1,1,0] neg_lo:[0,0,1] neg_hi:[0,0,1]
	v_pk_fma_f32 v[42:43], v[96:97], v[30:31], v[42:43] op_sel:[0,0,1] op_sel_hi:[1,0,0]
	v_pk_fma_f32 v[40:41], v[98:99], s[10:11], v[40:41] op_sel_hi:[1,0,1]
	v_mov_b32_e32 v47, v43
	v_pk_add_f32 v[42:43], v[36:37], v[48:49]
	v_pk_add_f32 v[50:51], v[48:49], v[46:47]
	;; [unrolled: 1-line block ×3, first 2 shown]
	v_pk_add_f32 v[46:47], v[48:49], v[46:47] neg_lo:[0,1] neg_hi:[0,1]
	v_pk_fma_f32 v[36:37], v[50:51], 0.5, v[36:37] op_sel_hi:[1,0,1] neg_lo:[1,0,0] neg_hi:[1,0,0]
	v_pk_mul_f32 v[46:47], v[46:47], s[10:11] op_sel_hi:[1,0]
	s_nop 0
	v_pk_add_f32 v[48:49], v[36:37], v[46:47] op_sel:[0,1] op_sel_hi:[1,0]
	v_pk_add_f32 v[36:37], v[36:37], v[46:47] op_sel:[0,1] op_sel_hi:[1,0] neg_lo:[0,1] neg_hi:[0,1]
	v_mov_b32_e32 v46, v48
	v_mov_b32_e32 v47, v37
	;; [unrolled: 1-line block ×3, first 2 shown]
	ds_write2_b64 v61, v[42:43], v[46:47] offset0:60 offset1:160
	ds_write_b64 v61, v[36:37] offset:2080
	s_and_saveexec_b64 s[10:11], vcc
	s_cbranch_execz .LBB0_5
; %bb.4:
	v_pk_add_f32 v[32:33], v[32:33], v[34:35]
	v_mov_b32_e32 v34, v38
	v_pk_add_f32 v[32:33], v[32:33], v[44:45]
	ds_write_b64 v61, v[32:33] offset:720
	v_mov_b32_e32 v32, v40
	v_mov_b32_e32 v33, v39
	v_mov_b32_e32 v35, v41
	v_add_u32_e32 v36, 0x400, v55
	ds_write2_b64 v36, v[32:33], v[34:35] offset0:62 offset1:162
.LBB0_5:
	s_or_b64 exec, exec, s[10:11]
	s_waitcnt lgkmcnt(0)
	; wave barrier
	s_waitcnt lgkmcnt(0)
	global_load_dwordx2 v[36:37], v[104:105], off offset:2400
	s_add_u32 s8, s8, 0x960
	s_addc_u32 s9, s9, 0
	v_lshlrev_b32_e32 v32, 3, v54
	global_load_dwordx2 v[50:51], v32, s[8:9] offset:240
	global_load_dwordx2 v[108:109], v32, s[8:9] offset:480
	;; [unrolled: 1-line block ×9, first 2 shown]
	v_add_u32_e32 v102, 0x400, v61
	ds_read2_b64 v[32:35], v61 offset1:30
	ds_read2_b64 v[42:45], v61 offset0:60 offset1:90
	ds_read2_b64 v[46:49], v61 offset0:120 offset1:150
	;; [unrolled: 1-line block ×4, first 2 shown]
	s_mov_b32 s8, 0x3f737871
	s_mov_b32 s12, 0x3f167918
	;; [unrolled: 1-line block ×10, first 2 shown]
	s_waitcnt vmcnt(5) lgkmcnt(2)
	v_mul_f32_e32 v126, v47, v113
	v_mul_f32_e32 v100, v33, v37
	v_mul_f32_e32 v125, v32, v37
	v_fma_f32 v124, v32, v36, -v100
	v_fmac_f32_e32 v125, v33, v36
	v_mul_f32_e32 v32, v35, v51
	v_mul_f32_e32 v33, v34, v51
	;; [unrolled: 1-line block ×7, first 2 shown]
	s_waitcnt vmcnt(4)
	v_mul_f32_e32 v127, v49, v115
	v_mul_f32_e32 v111, v48, v115
	s_waitcnt vmcnt(3) lgkmcnt(1)
	v_mul_f32_e32 v128, v97, v117
	v_mul_f32_e32 v113, v96, v117
	s_waitcnt vmcnt(2)
	v_mul_f32_e32 v129, v99, v119
	v_mul_f32_e32 v115, v98, v119
	s_waitcnt vmcnt(1) lgkmcnt(0)
	v_mul_f32_e32 v130, v105, v121
	v_mul_f32_e32 v117, v104, v121
	s_waitcnt vmcnt(0)
	v_mul_f32_e32 v121, v107, v123
	v_mul_f32_e32 v119, v106, v123
	v_fma_f32 v32, v34, v50, -v32
	v_fmac_f32_e32 v33, v35, v50
	v_fma_f32 v36, v42, v108, -v36
	v_fmac_f32_e32 v37, v43, v108
	;; [unrolled: 2-line block ×9, first 2 shown]
	ds_write2_b64 v61, v[124:125], v[32:33] offset1:30
	ds_write2_b64 v61, v[36:37], v[50:51] offset0:60 offset1:90
	ds_write2_b64 v61, v[108:109], v[110:111] offset0:120 offset1:150
	;; [unrolled: 1-line block ×4, first 2 shown]
	s_waitcnt lgkmcnt(0)
	; wave barrier
	s_waitcnt lgkmcnt(0)
	ds_read2_b64 v[32:35], v61 offset1:30
	ds_read2_b64 v[42:45], v61 offset0:60 offset1:90
	ds_read2_b64 v[46:49], v102 offset0:112 offset1:142
	;; [unrolled: 1-line block ×4, first 2 shown]
	s_waitcnt lgkmcnt(0)
	v_mov_b32_e32 v110, v44
	v_mov_b32_e32 v111, v48
	;; [unrolled: 1-line block ×4, first 2 shown]
	v_pk_add_f32 v[50:51], v[44:45], v[48:49]
	v_pk_add_f32 v[108:109], v[108:109], v[110:111] neg_lo:[0,1] neg_hi:[0,1]
	v_fma_f32 v136, -0.5, v50, v34
	v_mov_b32_e32 v50, v109
	v_mov_b32_e32 v114, v99
	;; [unrolled: 1-line block ×3, first 2 shown]
	v_fma_f32 v137, -0.5, v51, v35
	v_pk_add_f32 v[50:51], v[108:109], v[50:51]
	v_mov_b32_e32 v108, v45
	v_mov_b32_e32 v109, v49
	v_pk_add_f32 v[108:109], v[114:115], v[108:109] neg_lo:[0,1] neg_hi:[0,1]
	v_pk_add_f32 v[114:115], v[96:97], v[104:105]
	v_pk_add_f32 v[116:117], v[42:43], v[46:47] neg_lo:[0,1] neg_hi:[0,1]
	v_pk_fma_f32 v[114:115], v[114:115], 0.5, v[32:33] op_sel_hi:[1,0,1] neg_lo:[1,0,0] neg_hi:[1,0,0]
	v_pk_mul_f32 v[118:119], v[116:117], s[8:9] op_sel_hi:[1,0]
	v_pk_add_f32 v[120:121], v[96:97], v[104:105] neg_lo:[0,1] neg_hi:[0,1]
	v_pk_add_f32 v[124:125], v[42:43], v[96:97] neg_lo:[0,1] neg_hi:[0,1]
	;; [unrolled: 1-line block ×3, first 2 shown]
	v_pk_mul_f32 v[122:123], v[120:121], s[12:13] op_sel_hi:[1,0]
	v_pk_add_f32 v[124:125], v[124:125], v[126:127]
	v_pk_add_f32 v[126:127], v[114:115], v[118:119] op_sel:[0,1] op_sel_hi:[1,0] neg_lo:[0,1] neg_hi:[0,1]
	v_pk_add_f32 v[112:113], v[34:35], v[44:45]
	v_pk_add_f32 v[114:115], v[114:115], v[118:119] op_sel:[0,1] op_sel_hi:[1,0]
	v_pk_add_f32 v[118:119], v[126:127], v[122:123] op_sel:[0,1] op_sel_hi:[1,0] neg_lo:[0,1] neg_hi:[0,1]
	v_pk_add_f32 v[126:127], v[98:99], v[106:107]
	v_pk_add_f32 v[110:111], v[112:113], v[98:99]
	v_pk_fma_f32 v[34:35], v[126:127], 0.5, v[34:35] op_sel_hi:[1,0,1] neg_lo:[1,0,0] neg_hi:[1,0,0]
	v_pk_add_f32 v[126:127], v[44:45], v[48:49] neg_lo:[0,1] neg_hi:[0,1]
	v_pk_add_f32 v[110:111], v[110:111], v[106:107]
	v_pk_mul_f32 v[128:129], v[126:127], s[8:9] op_sel_hi:[1,0]
	v_pk_add_f32 v[132:133], v[98:99], v[106:107] neg_lo:[0,1] neg_hi:[0,1]
	v_pk_add_f32 v[112:113], v[110:111], v[48:49]
	v_pk_add_f32 v[114:115], v[114:115], v[122:123] op_sel:[0,1] op_sel_hi:[1,0]
	v_pk_add_f32 v[130:131], v[34:35], v[128:129] op_sel:[0,1] op_sel_hi:[1,0]
	v_pk_mul_f32 v[134:135], v[132:133], s[12:13] op_sel_hi:[1,0]
	v_pk_add_f32 v[44:45], v[44:45], v[98:99] neg_lo:[0,1] neg_hi:[0,1]
	v_pk_add_f32 v[48:49], v[48:49], v[106:107] neg_lo:[0,1] neg_hi:[0,1]
	v_pk_add_f32 v[34:35], v[34:35], v[128:129] op_sel:[0,1] op_sel_hi:[1,0] neg_lo:[0,1] neg_hi:[0,1]
	v_mov_b32_e32 v100, v109
	v_mov_b32_e32 v122, v118
	;; [unrolled: 1-line block ×3, first 2 shown]
	v_pk_add_f32 v[130:131], v[134:135], v[130:131] op_sel:[1,0] op_sel_hi:[0,1]
	v_pk_add_f32 v[44:45], v[44:45], v[48:49]
	v_pk_add_f32 v[34:35], v[34:35], v[134:135] op_sel:[0,1] op_sel_hi:[1,0] neg_lo:[0,1] neg_hi:[0,1]
	v_pk_add_f32 v[110:111], v[108:109], v[100:101]
	v_pk_fma_f32 v[122:123], v[124:125], s[10:11], v[122:123] op_sel_hi:[1,0,1]
	v_pk_fma_f32 v[48:49], v[44:45], s[10:11], v[130:131] op_sel_hi:[1,0,1]
	s_mov_b32 s11, s12
	v_mov_b32_e32 v130, v34
	v_pk_add_f32 v[36:37], v[32:33], v[42:43]
	v_pk_fma_f32 v[106:107], v[44:45], s[10:11], v[130:131] op_sel_hi:[1,0,1]
	v_mov_b32_e32 v111, v126
	v_pk_add_f32 v[36:37], v[36:37], v[96:97]
	v_pk_fma_f32 v[44:45], v[44:45], s[10:11], v[34:35] op_sel_hi:[1,0,1]
	v_pk_mul_f32 v[34:35], v[110:111], s[10:11]
	v_pk_mul_f32 v[110:111], v[106:107], s[12:13] op_sel_hi:[1,0]
	v_pk_add_f32 v[36:37], v[36:37], v[104:105]
	v_mov_b32_e32 v51, v127
	v_pk_fma_f32 v[126:127], v[106:107], s[14:15], v[110:111] op_sel:[0,0,1] op_sel_hi:[1,0,0] neg_lo:[0,0,1] neg_hi:[0,0,1]
	v_pk_fma_f32 v[106:107], v[106:107], s[14:15], v[110:111] op_sel:[0,0,1] op_sel_hi:[1,0,0]
	v_pk_add_f32 v[36:37], v[36:37], v[46:47]
	v_fmamk_f32 v98, v133, 0x3f737871, v136
	v_pk_mul_f32 v[50:51], v[50:51], s[10:11]
	v_fmac_f32_e32 v136, 0xbf737871, v133
	v_mov_b32_e32 v127, v107
	v_pk_add_f32 v[106:107], v[42:43], v[46:47]
	v_pk_add_f32 v[42:43], v[96:97], v[42:43] neg_lo:[0,1] neg_hi:[0,1]
	v_pk_add_f32 v[46:47], v[104:105], v[46:47] neg_lo:[0,1] neg_hi:[0,1]
	v_sub_f32_e32 v98, v98, v51
	v_add_f32_e32 v51, v51, v136
	v_pk_fma_f32 v[32:33], v[106:107], 0.5, v[32:33] op_sel_hi:[1,0,1] neg_lo:[1,0,0] neg_hi:[1,0,0]
	v_pk_add_f32 v[42:43], v[42:43], v[46:47]
	v_pk_mul_f32 v[46:47], v[120:121], s[8:9] op_sel_hi:[1,0]
	v_add_f32_e32 v98, v50, v98
	v_add_f32_e32 v50, v50, v51
	v_fmamk_f32 v51, v132, 0xbf737871, v137
	v_pk_mul_f32 v[96:97], v[116:117], s[12:13] op_sel_hi:[1,0]
	v_pk_add_f32 v[104:105], v[32:33], v[46:47] op_sel:[0,1] op_sel_hi:[1,0]
	v_pk_add_f32 v[32:33], v[32:33], v[46:47] op_sel:[0,1] op_sel_hi:[1,0] neg_lo:[0,1] neg_hi:[0,1]
	v_add_f32_e32 v51, v35, v51
	v_fmac_f32_e32 v137, 0x3f737871, v132
	v_pk_add_f32 v[46:47], v[32:33], v[96:97] op_sel:[0,1] op_sel_hi:[1,0]
	v_pk_add_f32 v[96:97], v[104:105], v[96:97] op_sel:[0,1] op_sel_hi:[1,0] neg_lo:[0,1] neg_hi:[0,1]
	v_add_f32_e32 v100, v34, v51
	v_sub_f32_e32 v35, v137, v35
	v_mov_b32_e32 v32, v96
	v_mov_b32_e32 v33, v47
	s_mov_b32 s9, s10
	v_add_f32_e32 v34, v34, v35
	v_pk_fma_f32 v[104:105], v[42:43], s[10:11], v[32:33] op_sel_hi:[1,0,1]
	v_pk_mul_f32 v[32:33], v[100:101], s[8:9] op_sel_hi:[0,1]
	v_pk_fma_f32 v[106:107], v[98:99], s[16:17], v[32:33] neg_lo:[0,0,1] neg_hi:[0,0,1]
	v_pk_fma_f32 v[32:33], v[98:99], s[16:17], v[32:33] op_sel_hi:[0,1,1]
	v_pk_mul_f32 v[34:35], v[34:35], s[8:9] op_sel_hi:[0,1]
	v_mov_b32_e32 v47, v97
	v_mov_b32_e32 v107, v33
	v_pk_fma_f32 v[50:51], v[50:51], s[18:19], v[34:35] op_sel_hi:[0,1,1] neg_lo:[0,0,1] neg_hi:[0,0,1]
	v_pk_fma_f32 v[42:43], v[42:43], s[10:11], v[46:47] op_sel_hi:[1,0,1]
	v_pk_add_f32 v[32:33], v[104:105], v[106:107]
	v_pk_add_f32 v[34:35], v[42:43], v[50:51]
	s_mov_b32 s13, s14
	; wave barrier
	ds_write_b128 v101, v[32:35] offset:16
	v_mov_b32_e32 v115, v119
	v_pk_mul_f32 v[32:33], v[44:45], s[12:13] op_sel:[1,0]
	v_pk_fma_f32 v[46:47], v[124:125], s[10:11], v[114:115] op_sel_hi:[1,0,1]
	v_pk_fma_f32 v[44:45], v[48:49], s[20:21], v[32:33] op_sel_hi:[0,1,1] neg_lo:[0,0,1] neg_hi:[0,0,1]
	v_pk_add_f32 v[32:33], v[46:47], v[44:45]
	v_pk_add_f32 v[34:35], v[36:37], v[112:113] neg_lo:[0,1] neg_hi:[0,1]
	ds_write_b128 v101, v[32:35] offset:32
	v_pk_add_f32 v[32:33], v[122:123], v[126:127] neg_lo:[0,1] neg_hi:[0,1]
	v_pk_add_f32 v[34:35], v[104:105], v[106:107] neg_lo:[0,1] neg_hi:[0,1]
	v_pk_add_f32 v[108:109], v[36:37], v[112:113]
	v_pk_add_f32 v[110:111], v[122:123], v[126:127]
	ds_write_b128 v101, v[32:35] offset:48
	v_pk_add_f32 v[32:33], v[42:43], v[50:51] neg_lo:[0,1] neg_hi:[0,1]
	v_pk_add_f32 v[34:35], v[46:47], v[44:45] neg_lo:[0,1] neg_hi:[0,1]
	ds_write_b128 v101, v[108:111]
	ds_write_b128 v101, v[32:35] offset:64
	s_waitcnt lgkmcnt(0)
	; wave barrier
	s_waitcnt lgkmcnt(0)
	ds_read2_b64 v[32:35], v61 offset0:60 offset1:90
	ds_read2_b64 v[42:45], v61 offset1:30
	ds_read2_b64 v[46:49], v61 offset0:120 offset1:150
	ds_read2_b64 v[96:99], v61 offset0:180 offset1:210
	;; [unrolled: 1-line block ×3, first 2 shown]
	s_waitcnt lgkmcnt(4)
	v_pk_mul_f32 v[36:37], v[78:79], v[32:33]
	s_mov_b32 s15, s12
	v_pk_fma_f32 v[50:51], v[6:7], v[32:33], v[36:37] op_sel:[0,0,1] op_sel_hi:[1,1,0]
	v_pk_fma_f32 v[6:7], v[6:7], v[32:33], v[36:37] op_sel:[0,0,1] op_sel_hi:[1,1,0] neg_lo:[0,0,1] neg_hi:[0,0,1]
	s_waitcnt lgkmcnt(0)
	v_mov_b32_e32 v51, v7
	v_pk_mul_f32 v[6:7], v[80:81], v[46:47]
	; wave barrier
	s_nop 0
	v_pk_fma_f32 v[32:33], v[2:3], v[46:47], v[6:7] op_sel:[0,0,1] op_sel_hi:[1,1,0]
	v_pk_fma_f32 v[2:3], v[2:3], v[46:47], v[6:7] op_sel:[0,0,1] op_sel_hi:[1,1,0] neg_lo:[0,0,1] neg_hi:[0,0,1]
	s_nop 0
	v_mov_b32_e32 v33, v3
	v_pk_mul_f32 v[2:3], v[82:83], v[96:97]
	v_pk_mul_f32 v[82:83], v[92:93], v[44:45]
	v_pk_fma_f32 v[6:7], v[10:11], v[96:97], v[2:3] op_sel:[0,0,1] op_sel_hi:[1,1,0]
	v_pk_fma_f32 v[2:3], v[10:11], v[96:97], v[2:3] op_sel:[0,0,1] op_sel_hi:[1,1,0] neg_lo:[0,0,1] neg_hi:[0,0,1]
	v_pk_add_f32 v[46:47], v[50:51], v[32:33] neg_lo:[0,1] neg_hi:[0,1]
	v_mov_b32_e32 v7, v3
	v_pk_mul_f32 v[2:3], v[84:85], v[104:105]
	v_pk_fma_f32 v[84:85], v[4:5], v[44:45], v[82:83] op_sel:[0,0,1] op_sel_hi:[1,1,0]
	v_pk_fma_f32 v[4:5], v[4:5], v[44:45], v[82:83] op_sel:[0,0,1] op_sel_hi:[1,1,0] neg_lo:[0,0,1] neg_hi:[0,0,1]
	v_pk_mul_f32 v[44:45], v[90:91], v[34:35]
	v_pk_fma_f32 v[10:11], v[14:15], v[104:105], v[2:3] op_sel:[0,0,1] op_sel_hi:[1,1,0]
	v_pk_fma_f32 v[82:83], v[0:1], v[34:35], v[44:45] op_sel:[0,0,1] op_sel_hi:[1,1,0]
	v_pk_fma_f32 v[0:1], v[0:1], v[34:35], v[44:45] op_sel:[0,0,1] op_sel_hi:[1,1,0] neg_lo:[0,0,1] neg_hi:[0,0,1]
	v_pk_mul_f32 v[34:35], v[88:89], v[48:49]
	v_pk_fma_f32 v[2:3], v[14:15], v[104:105], v[2:3] op_sel:[0,0,1] op_sel_hi:[1,1,0] neg_lo:[0,0,1] neg_hi:[0,0,1]
	v_pk_fma_f32 v[44:45], v[8:9], v[48:49], v[34:35] op_sel:[0,0,1] op_sel_hi:[1,1,0]
	v_pk_fma_f32 v[8:9], v[8:9], v[48:49], v[34:35] op_sel:[0,0,1] op_sel_hi:[1,1,0] neg_lo:[0,0,1] neg_hi:[0,0,1]
	v_pk_mul_f32 v[34:35], v[86:87], v[98:99]
	v_mov_b32_e32 v11, v3
	v_pk_fma_f32 v[48:49], v[12:13], v[98:99], v[34:35] op_sel:[0,0,1] op_sel_hi:[1,1,0]
	v_pk_fma_f32 v[12:13], v[12:13], v[98:99], v[34:35] op_sel:[0,0,1] op_sel_hi:[1,1,0] neg_lo:[0,0,1] neg_hi:[0,0,1]
	v_pk_mul_f32 v[34:35], v[76:77], v[106:107]
	v_pk_add_f32 v[2:3], v[32:33], v[6:7]
	v_pk_fma_f32 v[76:77], v[94:95], v[106:107], v[34:35] op_sel:[0,0,1] op_sel_hi:[1,1,0]
	v_pk_fma_f32 v[34:35], v[94:95], v[106:107], v[34:35] op_sel:[0,0,1] op_sel_hi:[1,1,0] neg_lo:[0,0,1] neg_hi:[0,0,1]
	v_mov_b32_e32 v92, v82
	v_mov_b32_e32 v93, v76
	;; [unrolled: 1-line block ×4, first 2 shown]
	v_pk_fma_f32 v[2:3], v[2:3], 0.5, v[42:43] op_sel_hi:[1,0,1] neg_lo:[1,0,0] neg_hi:[1,0,0]
	v_pk_add_f32 v[14:15], v[50:51], v[10:11] neg_lo:[0,1] neg_hi:[0,1]
	v_pk_add_f32 v[78:79], v[10:11], v[6:7] neg_lo:[0,1] neg_hi:[0,1]
	;; [unrolled: 1-line block ×4, first 2 shown]
	v_pk_add_f32 v[46:47], v[46:47], v[78:79]
	v_pk_fma_f32 v[78:79], v[14:15], s[8:9], v[2:3] op_sel:[1,0,0] op_sel_hi:[0,0,1]
	v_pk_fma_f32 v[2:3], v[14:15], s[8:9], v[2:3] op_sel:[1,0,0] op_sel_hi:[0,0,1] neg_lo:[1,0,0] neg_hi:[1,0,0]
	v_mov_b32_e32 v45, v9
	v_mov_b32_e32 v49, v13
	;; [unrolled: 1-line block ×3, first 2 shown]
	v_pk_fma_f32 v[2:3], v[36:37], s[12:13], v[2:3] op_sel:[1,0,0] op_sel_hi:[0,0,1] neg_lo:[1,0,0] neg_hi:[1,0,0]
	v_mov_b32_e32 v83, v1
	v_mov_b32_e32 v77, v35
	v_pk_add_f32 v[86:87], v[44:45], v[48:49]
	v_pk_add_f32 v[90:91], v[44:45], v[48:49] neg_lo:[0,1] neg_hi:[0,1]
	v_pk_add_f32 v[96:97], v[96:97], v[0:1]
	v_mov_b32_e32 v81, v3
	v_fma_f32 v3, -0.5, v86, v84
	v_pk_add_f32 v[88:89], v[82:83], v[76:77] neg_lo:[0,1] neg_hi:[0,1]
	v_mov_b32_e32 v97, v91
	v_fmamk_f32 v4, v89, 0xbf737871, v3
	v_pk_mul_f32 v[96:97], v[96:97], s[10:11]
	v_fmac_f32_e32 v3, 0x3f737871, v89
	v_sub_f32_e32 v0, v4, v97
	v_pk_add_f32 v[92:93], v[94:95], v[92:93] neg_lo:[0,1] neg_hi:[0,1]
	v_add_f32_e32 v4, v96, v0
	v_add_f32_e32 v0, v97, v3
	v_mov_b32_e32 v8, v93
	v_add_f32_e32 v0, v96, v0
	v_pk_add_f32 v[96:97], v[82:83], v[76:77]
	v_mov_b32_e32 v3, v84
	v_pk_add_f32 v[92:93], v[92:93], v[8:9]
	v_mov_b32_e32 v85, v5
	v_fmac_f32_e32 v3, -0.5, v96
	v_mov_b32_e32 v93, v89
	v_fmamk_f32 v12, v91, 0x3f737871, v3
	v_pk_mul_f32 v[92:93], v[92:93], s[10:11]
	v_fmac_f32_e32 v3, 0xbf737871, v91
	v_pk_add_f32 v[82:83], v[84:85], v[82:83]
	v_pk_fma_f32 v[78:79], v[36:37], s[12:13], v[78:79] op_sel:[1,0,0] op_sel_hi:[0,0,1]
	v_sub_f32_e32 v8, v12, v93
	v_add_f32_e32 v3, v93, v3
	v_pk_add_f32 v[44:45], v[82:83], v[44:45]
	v_mov_b32_e32 v34, v1
	v_mov_b32_e32 v12, v9
	;; [unrolled: 1-line block ×3, first 2 shown]
	v_add_f32_e32 v78, v92, v3
	v_pk_add_f32 v[44:45], v[44:45], v[48:49]
	v_fma_f32 v3, -0.5, v87, v5
	v_pk_add_f32 v[48:49], v[34:35], v[12:13] neg_lo:[0,1] neg_hi:[0,1]
	v_pk_add_f32 v[44:45], v[44:45], v[76:77]
	v_fmamk_f32 v77, v88, 0x3f737871, v3
	v_mov_b32_e32 v76, v49
	v_pk_add_f32 v[48:49], v[48:49], v[76:77]
	v_pk_add_f32 v[12:13], v[12:13], v[34:35] neg_lo:[0,1] neg_hi:[0,1]
	v_mov_b32_e32 v49, v90
	v_pk_mul_f32 v[48:49], v[48:49], s[10:11]
	v_mov_b32_e32 v34, v13
	v_add_f32_e32 v1, v49, v77
	v_fmac_f32_e32 v3, 0xbf737871, v88
	v_pk_add_f32 v[12:13], v[12:13], v[34:35]
	v_add_f32_e32 v76, v48, v1
	v_sub_f32_e32 v1, v3, v49
	v_fmac_f32_e32 v5, -0.5, v97
	v_mov_b32_e32 v13, v88
	v_add_f32_e32 v48, v48, v1
	v_fmamk_f32 v1, v90, 0xbf737871, v5
	v_pk_mul_f32 v[12:13], v[12:13], s[10:11]
	v_pk_add_f32 v[82:83], v[42:43], v[50:51]
	v_mov_b32_e32 v3, v79
	v_pk_fma_f32 v[80:81], v[46:47], s[10:11], v[80:81] op_sel_hi:[1,0,1]
	v_add_f32_e32 v1, v13, v1
	v_fmac_f32_e32 v5, 0x3f737871, v90
	v_pk_add_f32 v[82:83], v[82:83], v[32:33]
	v_pk_fma_f32 v[2:3], v[46:47], s[10:11], v[2:3] op_sel_hi:[1,0,1]
	v_pk_mul_f32 v[46:47], v[76:77], s[12:13] op_sel_hi:[0,1]
	v_add_f32_e32 v34, v12, v1
	v_sub_f32_e32 v1, v5, v13
	v_pk_add_f32 v[82:83], v[82:83], v[6:7]
	v_pk_fma_f32 v[76:77], v[4:5], s[14:15], v[46:47] neg_lo:[0,0,1] neg_hi:[0,0,1]
	v_pk_fma_f32 v[4:5], v[4:5], s[14:15], v[46:47] op_sel_hi:[0,1,1]
	v_pk_add_f32 v[82:83], v[82:83], v[10:11]
	v_mov_b32_e32 v77, v5
	v_pk_add_f32 v[84:85], v[82:83], v[44:45]
	v_pk_add_f32 v[4:5], v[2:3], v[76:77]
	ds_write2_b64 v103, v[84:85], v[4:5] offset1:10
	v_pk_add_f32 v[4:5], v[50:51], v[10:11]
	v_pk_add_f32 v[32:33], v[32:33], v[50:51] neg_lo:[0,1] neg_hi:[0,1]
	v_pk_fma_f32 v[4:5], v[4:5], 0.5, v[42:43] op_sel_hi:[1,0,1] neg_lo:[1,0,0] neg_hi:[1,0,0]
	v_pk_add_f32 v[6:7], v[6:7], v[10:11] neg_lo:[0,1] neg_hi:[0,1]
	v_pk_fma_f32 v[10:11], v[36:37], s[8:9], v[4:5] op_sel:[1,0,0] op_sel_hi:[0,0,1]
	v_pk_fma_f32 v[4:5], v[36:37], s[8:9], v[4:5] op_sel:[1,0,0] op_sel_hi:[0,0,1] neg_lo:[1,0,0] neg_hi:[1,0,0]
	v_add_f32_e32 v8, v92, v8
	v_add_f32_e32 v12, v12, v1
	v_pk_add_f32 v[6:7], v[32:33], v[6:7]
	v_pk_fma_f32 v[4:5], v[14:15], s[12:13], v[4:5] op_sel:[1,0,0] op_sel_hi:[0,0,1]
	v_pk_fma_f32 v[10:11], v[14:15], s[12:13], v[10:11] op_sel:[1,0,0] op_sel_hi:[0,0,1] neg_lo:[1,0,0] neg_hi:[1,0,0]
	v_pk_mul_f32 v[32:33], v[34:35], s[8:9] op_sel_hi:[0,1]
	v_mov_b32_e32 v14, v10
	v_mov_b32_e32 v15, v5
	v_pk_fma_f32 v[34:35], v[8:9], s[16:17], v[32:33] neg_lo:[0,0,1] neg_hi:[0,0,1]
	v_pk_fma_f32 v[8:9], v[8:9], s[16:17], v[32:33] op_sel_hi:[0,1,1]
	v_pk_mul_f32 v[12:13], v[12:13], s[8:9] op_sel_hi:[0,1]
	v_mov_b32_e32 v5, v11
	v_pk_mul_f32 v[48:49], v[48:49], s[12:13] op_sel_hi:[0,1]
	v_pk_fma_f32 v[14:15], v[6:7], s[10:11], v[14:15] op_sel_hi:[1,0,1]
	v_mov_b32_e32 v35, v9
	v_pk_fma_f32 v[12:13], v[78:79], s[18:19], v[12:13] op_sel_hi:[0,1,1] neg_lo:[0,0,1] neg_hi:[0,0,1]
	v_pk_fma_f32 v[4:5], v[6:7], s[10:11], v[4:5] op_sel_hi:[1,0,1]
	v_pk_fma_f32 v[48:49], v[0:1], s[20:21], v[48:49] op_sel_hi:[0,1,1] neg_lo:[0,0,1] neg_hi:[0,0,1]
	v_pk_add_f32 v[8:9], v[14:15], v[34:35]
	v_pk_add_f32 v[6:7], v[4:5], v[12:13]
	ds_write2_b64 v103, v[8:9], v[6:7] offset0:20 offset1:30
	v_pk_add_f32 v[6:7], v[80:81], v[48:49]
	v_pk_add_f32 v[8:9], v[82:83], v[44:45] neg_lo:[0,1] neg_hi:[0,1]
	ds_write2_b64 v103, v[6:7], v[8:9] offset0:40 offset1:50
	v_pk_add_f32 v[2:3], v[2:3], v[76:77] neg_lo:[0,1] neg_hi:[0,1]
	v_pk_add_f32 v[6:7], v[14:15], v[34:35] neg_lo:[0,1] neg_hi:[0,1]
	v_pk_add_f32 v[0:1], v[80:81], v[48:49] neg_lo:[0,1] neg_hi:[0,1]
	ds_write2_b64 v103, v[2:3], v[6:7] offset0:60 offset1:70
	v_pk_add_f32 v[2:3], v[4:5], v[12:13] neg_lo:[0,1] neg_hi:[0,1]
	ds_write2_b64 v103, v[2:3], v[0:1] offset0:80 offset1:90
	s_waitcnt lgkmcnt(0)
	; wave barrier
	s_waitcnt lgkmcnt(0)
	ds_read2_b64 v[12:15], v61 offset1:30
	ds_read2_b64 v[4:7], v61 offset0:60 offset1:100
	ds_read2_b64 v[32:35], v61 offset0:200 offset1:230
	;; [unrolled: 1-line block ×3, first 2 shown]
	ds_read_b64 v[36:37], v61 offset:2080
	s_and_saveexec_b64 s[8:9], s[0:1]
	s_xor_b64 s[0:1], exec, s[8:9]
	s_or_saveexec_b64 s[0:1], s[0:1]
	v_mov_b32_e32 v76, v20
	v_mov_b32_e32 v77, v20
	;; [unrolled: 1-line block ×18, first 2 shown]
	v_add_u32_e32 v78, 0x1e0, v61
	s_xor_b64 exec, exec, s[0:1]
	s_cbranch_execz .LBB0_7
; %bb.6:
	ds_read2_b64 v[0:3], v61 offset0:90 offset1:190
	ds_read_b64 v[38:39], v61 offset:2320
	s_waitcnt lgkmcnt(1)
	v_mov_b32_e32 v40, v2
	s_waitcnt lgkmcnt(0)
	v_mov_b32_e32 v41, v39
	v_mov_b32_e32 v39, v3
.LBB0_7:
	s_or_b64 exec, exec, s[0:1]
	s_waitcnt lgkmcnt(3)
	v_pk_mul_f32 v[2:3], v[20:21], v[6:7]
	s_waitcnt lgkmcnt(2)
	v_pk_mul_f32 v[20:21], v[22:23], v[32:33]
	;; [unrolled: 2-line block ×3, first 2 shown]
	v_pk_mul_f32 v[24:25], v[26:27], v[34:35]
	v_pk_mul_f32 v[26:27], v[28:29], v[10:11]
	s_waitcnt lgkmcnt(0)
	v_pk_mul_f32 v[28:29], v[30:31], v[36:37]
	v_pk_fma_f32 v[30:31], v[76:77], v[6:7], v[2:3] op_sel:[0,0,1] op_sel_hi:[1,1,0]
	v_pk_fma_f32 v[2:3], v[76:77], v[6:7], v[2:3] op_sel:[0,0,1] op_sel_hi:[1,1,0] neg_lo:[0,0,1] neg_hi:[0,0,1]
	v_pk_fma_f32 v[6:7], v[50:51], v[32:33], v[20:21] op_sel:[0,0,1] op_sel_hi:[1,1,0] neg_lo:[0,0,1] neg_hi:[0,0,1]
	v_mov_b32_e32 v31, v3
	v_pk_fma_f32 v[2:3], v[50:51], v[32:33], v[20:21] op_sel:[0,0,1] op_sel_hi:[1,1,0]
	s_mov_b32 s0, 0x3f5db3d7
	v_mov_b32_e32 v3, v7
	v_pk_add_f32 v[6:7], v[12:13], v[30:31]
	s_nop 0
	v_pk_add_f32 v[6:7], v[6:7], v[2:3]
	ds_write_b64 v61, v[6:7]
	v_pk_add_f32 v[6:7], v[30:31], v[2:3]
	v_pk_add_f32 v[2:3], v[30:31], v[2:3] neg_lo:[0,1] neg_hi:[0,1]
	v_pk_fma_f32 v[6:7], v[6:7], 0.5, v[12:13] op_sel_hi:[1,0,1] neg_lo:[1,0,0] neg_hi:[1,0,0]
	v_pk_mul_f32 v[2:3], v[2:3], s[0:1] op_sel_hi:[1,0]
	s_nop 0
	v_pk_add_f32 v[12:13], v[6:7], v[2:3] op_sel:[0,1] op_sel_hi:[1,0] neg_lo:[0,1] neg_hi:[0,1]
	v_pk_add_f32 v[2:3], v[6:7], v[2:3] op_sel:[0,1] op_sel_hi:[1,0]
	v_mov_b32_e32 v6, v12
	v_mov_b32_e32 v7, v3
	;; [unrolled: 1-line block ×3, first 2 shown]
	ds_write_b64 v55, v[6:7] offset:800
	ds_write_b64 v55, v[2:3] offset:1600
	v_pk_fma_f32 v[2:3], v[48:49], v[8:9], v[22:23] op_sel:[0,0,1] op_sel_hi:[1,1,0]
	v_pk_fma_f32 v[6:7], v[48:49], v[8:9], v[22:23] op_sel:[0,0,1] op_sel_hi:[1,1,0] neg_lo:[0,0,1] neg_hi:[0,0,1]
	v_pk_fma_f32 v[8:9], v[46:47], v[34:35], v[24:25] op_sel:[0,0,1] op_sel_hi:[1,1,0] neg_lo:[0,0,1] neg_hi:[0,0,1]
	v_mov_b32_e32 v3, v7
	v_pk_fma_f32 v[6:7], v[46:47], v[34:35], v[24:25] op_sel:[0,0,1] op_sel_hi:[1,1,0]
	s_nop 0
	v_mov_b32_e32 v7, v9
	v_pk_add_f32 v[8:9], v[14:15], v[2:3]
	s_nop 0
	v_pk_add_f32 v[8:9], v[8:9], v[6:7]
	ds_write_b64 v61, v[8:9] offset:240
	v_pk_add_f32 v[8:9], v[2:3], v[6:7]
	v_pk_add_f32 v[2:3], v[2:3], v[6:7] neg_lo:[0,1] neg_hi:[0,1]
	v_pk_fma_f32 v[8:9], v[8:9], 0.5, v[14:15] op_sel_hi:[1,0,1] neg_lo:[1,0,0] neg_hi:[1,0,0]
	v_pk_mul_f32 v[2:3], v[2:3], s[0:1] op_sel_hi:[1,0]
	s_nop 0
	v_pk_add_f32 v[6:7], v[8:9], v[2:3] op_sel:[0,1] op_sel_hi:[1,0] neg_lo:[0,1] neg_hi:[0,1]
	v_pk_add_f32 v[2:3], v[8:9], v[2:3] op_sel:[0,1] op_sel_hi:[1,0]
	v_mov_b32_e32 v8, v6
	v_mov_b32_e32 v9, v3
	;; [unrolled: 1-line block ×3, first 2 shown]
	ds_write_b64 v55, v[2:3] offset:1840
	v_pk_fma_f32 v[2:3], v[44:45], v[10:11], v[26:27] op_sel:[0,0,1] op_sel_hi:[1,1,0]
	v_pk_fma_f32 v[6:7], v[44:45], v[10:11], v[26:27] op_sel:[0,0,1] op_sel_hi:[1,1,0] neg_lo:[0,0,1] neg_hi:[0,0,1]
	ds_write_b64 v55, v[8:9] offset:1040
	v_mov_b32_e32 v3, v7
	v_pk_fma_f32 v[6:7], v[42:43], v[36:37], v[28:29] op_sel:[0,0,1] op_sel_hi:[1,1,0]
	v_pk_fma_f32 v[8:9], v[42:43], v[36:37], v[28:29] op_sel:[0,0,1] op_sel_hi:[1,1,0] neg_lo:[0,0,1] neg_hi:[0,0,1]
	s_nop 0
	v_mov_b32_e32 v7, v9
	v_pk_add_f32 v[8:9], v[4:5], v[2:3]
	s_nop 0
	v_pk_add_f32 v[8:9], v[8:9], v[6:7]
	ds_write_b64 v61, v[8:9] offset:480
	v_pk_add_f32 v[8:9], v[2:3], v[6:7]
	v_pk_add_f32 v[2:3], v[2:3], v[6:7] neg_lo:[0,1] neg_hi:[0,1]
	v_pk_fma_f32 v[4:5], v[8:9], 0.5, v[4:5] op_sel_hi:[1,0,1] neg_lo:[1,0,0] neg_hi:[1,0,0]
	v_pk_mul_f32 v[2:3], v[2:3], s[0:1] op_sel_hi:[1,0]
	s_nop 0
	v_pk_add_f32 v[6:7], v[4:5], v[2:3] op_sel:[0,1] op_sel_hi:[1,0] neg_lo:[0,1] neg_hi:[0,1]
	v_pk_add_f32 v[2:3], v[4:5], v[2:3] op_sel:[0,1] op_sel_hi:[1,0]
	v_mov_b32_e32 v4, v6
	v_mov_b32_e32 v5, v3
	;; [unrolled: 1-line block ×3, first 2 shown]
	ds_write2_b64 v78, v[4:5], v[2:3] offset0:100 offset1:200
	s_and_saveexec_b64 s[8:9], vcc
	s_cbranch_execz .LBB0_9
; %bb.8:
	v_pk_mul_f32 v[2:3], v[16:17], v[38:39] op_sel:[0,1]
	v_pk_mul_f32 v[4:5], v[18:19], v[40:41] op_sel:[0,1]
	v_pk_fma_f32 v[6:7], v[16:17], v[40:41], v[2:3] op_sel:[0,0,1] op_sel_hi:[1,1,0]
	v_pk_fma_f32 v[2:3], v[16:17], v[40:41], v[2:3] op_sel:[0,0,1] op_sel_hi:[1,0,0] neg_lo:[1,0,0] neg_hi:[1,0,0]
	s_nop 0
	v_mov_b32_e32 v7, v3
	v_pk_fma_f32 v[2:3], v[18:19], v[38:39], v[4:5] op_sel:[0,0,1] op_sel_hi:[1,1,0]
	v_pk_fma_f32 v[4:5], v[18:19], v[38:39], v[4:5] op_sel:[0,0,1] op_sel_hi:[1,0,0] neg_lo:[1,0,0] neg_hi:[1,0,0]
	s_nop 0
	v_mov_b32_e32 v3, v5
	v_pk_add_f32 v[4:5], v[0:1], v[6:7]
	s_nop 0
	v_pk_add_f32 v[4:5], v[4:5], v[2:3]
	ds_write_b64 v61, v[4:5] offset:720
	v_pk_add_f32 v[4:5], v[6:7], v[2:3]
	v_pk_add_f32 v[2:3], v[6:7], v[2:3] neg_lo:[0,1] neg_hi:[0,1]
	v_pk_fma_f32 v[0:1], -0.5, v[4:5], v[0:1] op_sel_hi:[0,1,1]
	v_pk_mul_f32 v[2:3], v[2:3], s[0:1] op_sel_hi:[1,0]
	s_nop 0
	v_pk_add_f32 v[4:5], v[0:1], v[2:3] op_sel:[0,1] op_sel_hi:[1,0] neg_lo:[0,1] neg_hi:[0,1]
	v_pk_add_f32 v[0:1], v[0:1], v[2:3] op_sel:[0,1] op_sel_hi:[1,0]
	v_mov_b32_e32 v2, v4
	v_mov_b32_e32 v3, v1
	;; [unrolled: 1-line block ×3, first 2 shown]
	v_add_u32_e32 v4, 0x400, v55
	ds_write2_b64 v4, v[2:3], v[0:1] offset0:62 offset1:162
.LBB0_9:
	s_or_b64 exec, exec, s[8:9]
	s_waitcnt lgkmcnt(0)
	; wave barrier
	s_waitcnt lgkmcnt(0)
	ds_read2_b64 v[0:3], v61 offset1:30
	v_mad_u64_u32 v[6:7], s[0:1], s6, v60, 0
	v_mov_b32_e32 v8, v7
	v_mad_u64_u32 v[8:9], s[0:1], s7, v60, v[8:9]
	v_mov_b32_e32 v7, v8
	s_waitcnt lgkmcnt(0)
	v_mul_f32_e32 v8, v75, v1
	v_fmac_f32_e32 v8, v74, v0
	v_mul_f32_e32 v0, v75, v0
	s_mov_b32 s0, 0xb4e81b4f
	v_fma_f32 v0, v74, v1, -v0
	v_cvt_f64_f32_e32 v[8:9], v8
	s_mov_b32 s1, 0x3f6b4e81
	v_cvt_f64_f32_e32 v[0:1], v0
	v_mul_f64 v[8:9], v[8:9], s[0:1]
	v_mul_f64 v[0:1], v[0:1], s[0:1]
	v_mov_b32_e32 v4, s2
	v_mov_b32_e32 v5, s3
	v_cvt_f32_f64_e32 v8, v[8:9]
	v_cvt_f32_f64_e32 v9, v[0:1]
	v_mad_u64_u32 v[0:1], s[2:3], s4, v54, 0
	v_mov_b32_e32 v10, v1
	v_mad_u64_u32 v[10:11], s[2:3], s5, v54, v[10:11]
	v_mov_b32_e32 v1, v10
	v_lshl_add_u64 v[4:5], v[6:7], 3, v[4:5]
	v_lshl_add_u64 v[4:5], v[0:1], 3, v[4:5]
	v_mul_f32_e32 v0, v73, v3
	v_fmac_f32_e32 v0, v72, v2
	v_cvt_f64_f32_e32 v[0:1], v0
	v_mul_f64 v[0:1], v[0:1], s[0:1]
	v_cvt_f32_f64_e32 v6, v[0:1]
	v_mul_f32_e32 v0, v73, v2
	v_fma_f32 v0, v72, v3, -v0
	v_cvt_f64_f32_e32 v[0:1], v0
	v_mul_f64 v[0:1], v[0:1], s[0:1]
	v_cvt_f32_f64_e32 v7, v[0:1]
	ds_read2_b64 v[0:3], v61 offset0:60 offset1:90
	global_store_dwordx2 v[4:5], v[8:9], off
	v_mov_b32_e32 v8, 0xf0
	v_mad_u64_u32 v[4:5], s[2:3], s4, v8, v[4:5]
	s_mulk_i32 s5, 0xf0
	v_add_u32_e32 v5, s5, v5
	global_store_dwordx2 v[4:5], v[6:7], off
	s_waitcnt lgkmcnt(0)
	v_mul_f32_e32 v6, v71, v1
	v_fmac_f32_e32 v6, v70, v0
	v_mul_f32_e32 v0, v71, v0
	v_fma_f32 v0, v70, v1, -v0
	v_cvt_f64_f32_e32 v[6:7], v6
	v_cvt_f64_f32_e32 v[0:1], v0
	v_mul_f64 v[6:7], v[6:7], s[0:1]
	v_mul_f64 v[0:1], v[0:1], s[0:1]
	v_cvt_f32_f64_e32 v6, v[6:7]
	v_cvt_f32_f64_e32 v7, v[0:1]
	v_mul_f32_e32 v0, v65, v3
	v_fmac_f32_e32 v0, v64, v2
	v_mad_u64_u32 v[4:5], s[2:3], s4, v8, v[4:5]
	v_cvt_f64_f32_e32 v[0:1], v0
	v_add_u32_e32 v5, s5, v5
	v_mul_f64 v[0:1], v[0:1], s[0:1]
	global_store_dwordx2 v[4:5], v[6:7], off
	v_cvt_f32_f64_e32 v6, v[0:1]
	v_mul_f32_e32 v0, v65, v2
	v_fma_f32 v0, v64, v3, -v0
	v_cvt_f64_f32_e32 v[0:1], v0
	v_mul_f64 v[0:1], v[0:1], s[0:1]
	v_cvt_f32_f64_e32 v7, v[0:1]
	ds_read2_b64 v[0:3], v61 offset0:120 offset1:150
	v_mad_u64_u32 v[4:5], s[2:3], s4, v8, v[4:5]
	v_add_u32_e32 v5, s5, v5
	global_store_dwordx2 v[4:5], v[6:7], off
	s_waitcnt lgkmcnt(0)
	v_mul_f32_e32 v6, v69, v1
	v_fmac_f32_e32 v6, v68, v0
	v_mul_f32_e32 v0, v69, v0
	v_fma_f32 v0, v68, v1, -v0
	v_cvt_f64_f32_e32 v[6:7], v6
	v_cvt_f64_f32_e32 v[0:1], v0
	v_mul_f64 v[6:7], v[6:7], s[0:1]
	v_mul_f64 v[0:1], v[0:1], s[0:1]
	v_cvt_f32_f64_e32 v6, v[6:7]
	v_cvt_f32_f64_e32 v7, v[0:1]
	v_mul_f32_e32 v0, v67, v3
	v_fmac_f32_e32 v0, v66, v2
	v_mad_u64_u32 v[4:5], s[2:3], s4, v8, v[4:5]
	v_cvt_f64_f32_e32 v[0:1], v0
	v_add_u32_e32 v5, s5, v5
	v_mul_f64 v[0:1], v[0:1], s[0:1]
	global_store_dwordx2 v[4:5], v[6:7], off
	v_cvt_f32_f64_e32 v6, v[0:1]
	v_mul_f32_e32 v0, v67, v2
	v_fma_f32 v0, v66, v3, -v0
	v_cvt_f64_f32_e32 v[0:1], v0
	v_mul_f64 v[0:1], v[0:1], s[0:1]
	v_cvt_f32_f64_e32 v7, v[0:1]
	ds_read2_b64 v[0:3], v61 offset0:180 offset1:210
	v_mad_u64_u32 v[4:5], s[2:3], s4, v8, v[4:5]
	v_add_u32_e32 v5, s5, v5
	global_store_dwordx2 v[4:5], v[6:7], off
	s_waitcnt lgkmcnt(0)
	v_mul_f32_e32 v6, v63, v1
	v_fmac_f32_e32 v6, v62, v0
	v_mul_f32_e32 v0, v63, v0
	v_fma_f32 v0, v62, v1, -v0
	v_cvt_f64_f32_e32 v[6:7], v6
	v_cvt_f64_f32_e32 v[0:1], v0
	v_mul_f64 v[6:7], v[6:7], s[0:1]
	v_mul_f64 v[0:1], v[0:1], s[0:1]
	v_cvt_f32_f64_e32 v6, v[6:7]
	v_cvt_f32_f64_e32 v7, v[0:1]
	v_mul_f32_e32 v0, v59, v3
	v_fmac_f32_e32 v0, v58, v2
	v_mad_u64_u32 v[4:5], s[2:3], s4, v8, v[4:5]
	v_cvt_f64_f32_e32 v[0:1], v0
	v_add_u32_e32 v5, s5, v5
	v_mul_f64 v[0:1], v[0:1], s[0:1]
	global_store_dwordx2 v[4:5], v[6:7], off
	v_cvt_f32_f64_e32 v6, v[0:1]
	v_mul_f32_e32 v0, v59, v2
	v_fma_f32 v0, v58, v3, -v0
	v_cvt_f64_f32_e32 v[0:1], v0
	v_mul_f64 v[0:1], v[0:1], s[0:1]
	v_cvt_f32_f64_e32 v7, v[0:1]
	v_add_u32_e32 v0, 0x400, v61
	ds_read2_b64 v[0:3], v0 offset0:112 offset1:142
	v_mad_u64_u32 v[4:5], s[2:3], s4, v8, v[4:5]
	v_add_u32_e32 v5, s5, v5
	global_store_dwordx2 v[4:5], v[6:7], off
	s_waitcnt lgkmcnt(0)
	v_mul_f32_e32 v6, v57, v1
	v_fmac_f32_e32 v6, v56, v0
	v_mul_f32_e32 v0, v57, v0
	v_fma_f32 v0, v56, v1, -v0
	v_cvt_f64_f32_e32 v[6:7], v6
	v_cvt_f64_f32_e32 v[0:1], v0
	v_mul_f64 v[6:7], v[6:7], s[0:1]
	v_mul_f64 v[0:1], v[0:1], s[0:1]
	v_cvt_f32_f64_e32 v6, v[6:7]
	v_cvt_f32_f64_e32 v7, v[0:1]
	v_mad_u64_u32 v[0:1], s[2:3], s4, v8, v[4:5]
	v_mul_f32_e32 v4, v53, v3
	v_fmac_f32_e32 v4, v52, v2
	v_mul_f32_e32 v2, v53, v2
	v_fma_f32 v2, v52, v3, -v2
	v_add_u32_e32 v1, s5, v1
	v_cvt_f64_f32_e32 v[4:5], v4
	v_cvt_f64_f32_e32 v[2:3], v2
	global_store_dwordx2 v[0:1], v[6:7], off
	v_mul_f64 v[4:5], v[4:5], s[0:1]
	v_mul_f64 v[2:3], v[2:3], s[0:1]
	v_mad_u64_u32 v[0:1], s[0:1], s4, v8, v[0:1]
	v_cvt_f32_f64_e32 v4, v[4:5]
	v_cvt_f32_f64_e32 v5, v[2:3]
	v_add_u32_e32 v1, s5, v1
	global_store_dwordx2 v[0:1], v[4:5], off
.LBB0_10:
	s_endpgm
	.section	.rodata,"a",@progbits
	.p2align	6, 0x0
	.amdhsa_kernel bluestein_single_back_len300_dim1_sp_op_CI_CI
		.amdhsa_group_segment_fixed_size 4800
		.amdhsa_private_segment_fixed_size 0
		.amdhsa_kernarg_size 104
		.amdhsa_user_sgpr_count 2
		.amdhsa_user_sgpr_dispatch_ptr 0
		.amdhsa_user_sgpr_queue_ptr 0
		.amdhsa_user_sgpr_kernarg_segment_ptr 1
		.amdhsa_user_sgpr_dispatch_id 0
		.amdhsa_user_sgpr_kernarg_preload_length 0
		.amdhsa_user_sgpr_kernarg_preload_offset 0
		.amdhsa_user_sgpr_private_segment_size 0
		.amdhsa_uses_dynamic_stack 0
		.amdhsa_enable_private_segment 0
		.amdhsa_system_sgpr_workgroup_id_x 1
		.amdhsa_system_sgpr_workgroup_id_y 0
		.amdhsa_system_sgpr_workgroup_id_z 0
		.amdhsa_system_sgpr_workgroup_info 0
		.amdhsa_system_vgpr_workitem_id 0
		.amdhsa_next_free_vgpr 138
		.amdhsa_next_free_sgpr 24
		.amdhsa_accum_offset 140
		.amdhsa_reserve_vcc 1
		.amdhsa_float_round_mode_32 0
		.amdhsa_float_round_mode_16_64 0
		.amdhsa_float_denorm_mode_32 3
		.amdhsa_float_denorm_mode_16_64 3
		.amdhsa_dx10_clamp 1
		.amdhsa_ieee_mode 1
		.amdhsa_fp16_overflow 0
		.amdhsa_tg_split 0
		.amdhsa_exception_fp_ieee_invalid_op 0
		.amdhsa_exception_fp_denorm_src 0
		.amdhsa_exception_fp_ieee_div_zero 0
		.amdhsa_exception_fp_ieee_overflow 0
		.amdhsa_exception_fp_ieee_underflow 0
		.amdhsa_exception_fp_ieee_inexact 0
		.amdhsa_exception_int_div_zero 0
	.end_amdhsa_kernel
	.text
.Lfunc_end0:
	.size	bluestein_single_back_len300_dim1_sp_op_CI_CI, .Lfunc_end0-bluestein_single_back_len300_dim1_sp_op_CI_CI
                                        ; -- End function
	.section	.AMDGPU.csdata,"",@progbits
; Kernel info:
; codeLenInByte = 8180
; NumSgprs: 30
; NumVgprs: 138
; NumAgprs: 0
; TotalNumVgprs: 138
; ScratchSize: 0
; MemoryBound: 0
; FloatMode: 240
; IeeeMode: 1
; LDSByteSize: 4800 bytes/workgroup (compile time only)
; SGPRBlocks: 3
; VGPRBlocks: 17
; NumSGPRsForWavesPerEU: 30
; NumVGPRsForWavesPerEU: 138
; AccumOffset: 140
; Occupancy: 3
; WaveLimiterHint : 1
; COMPUTE_PGM_RSRC2:SCRATCH_EN: 0
; COMPUTE_PGM_RSRC2:USER_SGPR: 2
; COMPUTE_PGM_RSRC2:TRAP_HANDLER: 0
; COMPUTE_PGM_RSRC2:TGID_X_EN: 1
; COMPUTE_PGM_RSRC2:TGID_Y_EN: 0
; COMPUTE_PGM_RSRC2:TGID_Z_EN: 0
; COMPUTE_PGM_RSRC2:TIDIG_COMP_CNT: 0
; COMPUTE_PGM_RSRC3_GFX90A:ACCUM_OFFSET: 34
; COMPUTE_PGM_RSRC3_GFX90A:TG_SPLIT: 0
	.text
	.p2alignl 6, 3212836864
	.fill 256, 4, 3212836864
	.type	__hip_cuid_d337e5f0afbc29ac,@object ; @__hip_cuid_d337e5f0afbc29ac
	.section	.bss,"aw",@nobits
	.globl	__hip_cuid_d337e5f0afbc29ac
__hip_cuid_d337e5f0afbc29ac:
	.byte	0                               ; 0x0
	.size	__hip_cuid_d337e5f0afbc29ac, 1

	.ident	"AMD clang version 19.0.0git (https://github.com/RadeonOpenCompute/llvm-project roc-6.4.0 25133 c7fe45cf4b819c5991fe208aaa96edf142730f1d)"
	.section	".note.GNU-stack","",@progbits
	.addrsig
	.addrsig_sym __hip_cuid_d337e5f0afbc29ac
	.amdgpu_metadata
---
amdhsa.kernels:
  - .agpr_count:     0
    .args:
      - .actual_access:  read_only
        .address_space:  global
        .offset:         0
        .size:           8
        .value_kind:     global_buffer
      - .actual_access:  read_only
        .address_space:  global
        .offset:         8
        .size:           8
        .value_kind:     global_buffer
      - .actual_access:  read_only
        .address_space:  global
        .offset:         16
        .size:           8
        .value_kind:     global_buffer
      - .actual_access:  read_only
        .address_space:  global
        .offset:         24
        .size:           8
        .value_kind:     global_buffer
      - .actual_access:  read_only
        .address_space:  global
        .offset:         32
        .size:           8
        .value_kind:     global_buffer
      - .offset:         40
        .size:           8
        .value_kind:     by_value
      - .address_space:  global
        .offset:         48
        .size:           8
        .value_kind:     global_buffer
      - .address_space:  global
        .offset:         56
        .size:           8
        .value_kind:     global_buffer
      - .address_space:  global
        .offset:         64
        .size:           8
        .value_kind:     global_buffer
      - .address_space:  global
        .offset:         72
        .size:           8
        .value_kind:     global_buffer
      - .offset:         80
        .size:           4
        .value_kind:     by_value
      - .address_space:  global
        .offset:         88
        .size:           8
        .value_kind:     global_buffer
      - .address_space:  global
        .offset:         96
        .size:           8
        .value_kind:     global_buffer
    .group_segment_fixed_size: 4800
    .kernarg_segment_align: 8
    .kernarg_segment_size: 104
    .language:       OpenCL C
    .language_version:
      - 2
      - 0
    .max_flat_workgroup_size: 60
    .name:           bluestein_single_back_len300_dim1_sp_op_CI_CI
    .private_segment_fixed_size: 0
    .sgpr_count:     30
    .sgpr_spill_count: 0
    .symbol:         bluestein_single_back_len300_dim1_sp_op_CI_CI.kd
    .uniform_work_group_size: 1
    .uses_dynamic_stack: false
    .vgpr_count:     138
    .vgpr_spill_count: 0
    .wavefront_size: 64
amdhsa.target:   amdgcn-amd-amdhsa--gfx950
amdhsa.version:
  - 1
  - 2
...

	.end_amdgpu_metadata
